;; amdgpu-corpus repo=ggml-org/llama.cpp kind=compiled arch=gfx1100 opt=O3
	.text
	.amdgcn_target "amdgcn-amd-amdhsa--gfx1100"
	.amdhsa_code_object_version 6
	.section	.text._ZL12rwkv_wkv_f32ILi64EEviiiiPKfS1_S1_S1_S1_S1_Pf,"axG",@progbits,_ZL12rwkv_wkv_f32ILi64EEviiiiPKfS1_S1_S1_S1_S1_Pf,comdat
	.globl	_ZL12rwkv_wkv_f32ILi64EEviiiiPKfS1_S1_S1_S1_S1_Pf ; -- Begin function _ZL12rwkv_wkv_f32ILi64EEviiiiPKfS1_S1_S1_S1_S1_Pf
	.p2align	8
	.type	_ZL12rwkv_wkv_f32ILi64EEviiiiPKfS1_S1_S1_S1_S1_Pf,@function
_ZL12rwkv_wkv_f32ILi64EEviiiiPKfS1_S1_S1_S1_S1_Pf: ; @_ZL12rwkv_wkv_f32ILi64EEviiiiPKfS1_S1_S1_S1_S1_Pf
; %bb.0:
	s_load_b128 s[16:19], s[0:1], 0x0
	s_abs_i32 s5, s15
	s_waitcnt lgkmcnt(0)
	s_abs_i32 s2, s19
	s_delay_alu instid0(SALU_CYCLE_1) | instskip(SKIP_1) | instid1(VALU_DEP_1)
	v_cvt_f32_u32_e32 v1, s2
	s_sub_i32 s4, 0, s2
	v_rcp_iflag_f32_e32 v1, v1
	s_waitcnt_depctr 0xfff
	v_mul_f32_e32 v1, 0x4f7ffffe, v1
	s_delay_alu instid0(VALU_DEP_1) | instskip(NEXT) | instid1(VALU_DEP_1)
	v_cvt_u32_f32_e32 v1, v1
	v_readfirstlane_b32 s3, v1
	s_delay_alu instid0(VALU_DEP_1) | instskip(NEXT) | instid1(SALU_CYCLE_1)
	s_mul_i32 s4, s4, s3
	s_mul_hi_u32 s4, s3, s4
	s_delay_alu instid0(SALU_CYCLE_1) | instskip(SKIP_4) | instid1(SALU_CYCLE_1)
	s_add_i32 s3, s3, s4
	s_xor_b32 s4, s15, s19
	s_mul_hi_u32 s3, s5, s3
	s_ashr_i32 s4, s4, 31
	s_mul_i32 s6, s3, s2
	s_sub_i32 s5, s5, s6
	s_add_i32 s6, s3, 1
	s_sub_i32 s7, s5, s2
	s_cmp_ge_u32 s5, s2
	s_cselect_b32 s3, s6, s3
	s_cselect_b32 s5, s7, s5
	s_add_i32 s6, s3, 1
	s_cmp_ge_u32 s5, s2
	s_cselect_b32 s2, s6, s3
	s_delay_alu instid0(SALU_CYCLE_1) | instskip(NEXT) | instid1(SALU_CYCLE_1)
	s_xor_b32 s2, s2, s4
	s_sub_i32 s20, s2, s4
	s_delay_alu instid0(SALU_CYCLE_1) | instskip(SKIP_4) | instid1(SALU_CYCLE_1)
	s_mul_i32 s2, s20, s19
	s_mul_i32 s3, s18, s20
	s_sub_i32 s19, s15, s2
	s_lshl_b32 s2, s3, 6
	s_lshl_b32 s3, s19, 12
	v_add3_u32 v1, s3, s2, v0
	s_clause 0x1
	s_load_b256 s[8:15], s[0:1], 0x10
	s_load_b256 s[0:7], s[0:1], 0x30
	s_waitcnt lgkmcnt(0)
	s_abs_i32 s7, s17
	v_add_nc_u32_e32 v3, 0x400, v1
	v_ashrrev_i32_e32 v2, 31, v1
	v_add_nc_u32_e32 v5, 0x440, v1
	v_add_nc_u32_e32 v7, 0x480, v1
	v_add_nc_u32_e32 v9, 0x4c0, v1
	v_ashrrev_i32_e32 v4, 31, v3
	v_lshlrev_b64 v[19:20], 2, v[1:2]
	v_ashrrev_i32_e32 v6, 31, v5
	v_ashrrev_i32_e32 v8, 31, v7
	v_add_nc_u32_e32 v11, 0x500, v1
	v_lshlrev_b64 v[2:3], 2, v[3:4]
	v_ashrrev_i32_e32 v10, 31, v9
	v_lshlrev_b64 v[4:5], 2, v[5:6]
	v_add_nc_u32_e32 v13, 0x540, v1
	v_lshlrev_b64 v[6:7], 2, v[7:8]
	v_ashrrev_i32_e32 v12, 31, v11
	v_add_co_u32 v19, vcc_lo, s2, v19
	v_add_co_ci_u32_e32 v20, vcc_lo, s3, v20, vcc_lo
	v_add_co_u32 v2, vcc_lo, s2, v2
	v_add_nc_u32_e32 v15, 0x580, v1
	v_add_co_ci_u32_e32 v3, vcc_lo, s3, v3, vcc_lo
	v_lshlrev_b64 v[8:9], 2, v[9:10]
	v_add_co_u32 v4, vcc_lo, s2, v4
	v_add_nc_u32_e32 v17, 0x5c0, v1
	v_ashrrev_i32_e32 v14, 31, v13
	v_add_co_ci_u32_e32 v5, vcc_lo, s3, v5, vcc_lo
	v_lshlrev_b64 v[10:11], 2, v[11:12]
	v_add_co_u32 v6, vcc_lo, s2, v6
	v_ashrrev_i32_e32 v16, 31, v15
	v_add_co_ci_u32_e32 v7, vcc_lo, s3, v7, vcc_lo
	v_ashrrev_i32_e32 v18, 31, v17
	v_lshlrev_b64 v[12:13], 2, v[13:14]
	v_add_co_u32 v8, vcc_lo, s2, v8
	v_add_co_ci_u32_e32 v9, vcc_lo, s3, v9, vcc_lo
	v_lshlrev_b64 v[14:15], 2, v[15:16]
	v_add_co_u32 v10, vcc_lo, s2, v10
	v_lshlrev_b64 v[16:17], 2, v[17:18]
	v_add_co_ci_u32_e32 v11, vcc_lo, s3, v11, vcc_lo
	v_add_nc_u32_e32 v18, 0x600, v1
	v_add_co_u32 v12, vcc_lo, s2, v12
	s_clause 0xf
	global_load_b32 v70, v[19:20], off
	global_load_b32 v69, v[19:20], off offset:256
	global_load_b32 v68, v[19:20], off offset:512
	;; [unrolled: 1-line block ×15, first 2 shown]
	v_add_co_ci_u32_e32 v13, vcc_lo, s3, v13, vcc_lo
	v_add_nc_u32_e32 v20, 0x640, v1
	v_add_co_u32 v14, vcc_lo, s2, v14
	v_ashrrev_i32_e32 v19, 31, v18
	v_add_co_ci_u32_e32 v15, vcc_lo, s3, v15, vcc_lo
	v_add_nc_u32_e32 v22, 0x680, v1
	v_add_co_u32 v16, vcc_lo, s2, v16
	v_ashrrev_i32_e32 v21, 31, v20
	v_add_co_ci_u32_e32 v17, vcc_lo, s3, v17, vcc_lo
	s_clause 0x7
	global_load_b32 v50, v[2:3], off
	global_load_b32 v49, v[4:5], off
	;; [unrolled: 1-line block ×8, first 2 shown]
	v_add_nc_u32_e32 v4, 0x6c0, v1
	v_lshlrev_b64 v[18:19], 2, v[18:19]
	v_ashrrev_i32_e32 v23, 31, v22
	v_add_nc_u32_e32 v10, 0x700, v1
	v_lshlrev_b64 v[2:3], 2, v[20:21]
	v_ashrrev_i32_e32 v5, 31, v4
	v_add_nc_u32_e32 v12, 0x740, v1
	v_add_co_u32 v6, vcc_lo, s2, v18
	v_lshlrev_b64 v[8:9], 2, v[22:23]
	v_ashrrev_i32_e32 v11, 31, v10
	v_add_co_ci_u32_e32 v7, vcc_lo, s3, v19, vcc_lo
	v_add_nc_u32_e32 v14, 0x780, v1
	v_add_co_u32 v2, vcc_lo, s2, v2
	v_lshlrev_b64 v[4:5], 2, v[4:5]
	v_ashrrev_i32_e32 v13, 31, v12
	v_add_co_ci_u32_e32 v3, vcc_lo, s3, v3, vcc_lo
	;; [unrolled: 5-line block ×3, first 2 shown]
	v_add_co_u32 v4, vcc_lo, s2, v4
	v_lshlrev_b64 v[12:13], 2, v[12:13]
	v_ashrrev_i32_e32 v17, 31, v16
	v_add_co_ci_u32_e32 v5, vcc_lo, s3, v5, vcc_lo
	v_add_co_u32 v10, vcc_lo, s2, v10
	v_lshlrev_b64 v[14:15], 2, v[14:15]
	v_add_nc_u32_e32 v18, 0x800, v1
	v_add_co_ci_u32_e32 v11, vcc_lo, s3, v11, vcc_lo
	v_add_co_u32 v12, vcc_lo, s2, v12
	v_lshlrev_b64 v[16:17], 2, v[16:17]
	v_add_co_ci_u32_e32 v13, vcc_lo, s3, v13, vcc_lo
	v_add_nc_u32_e32 v23, 0x840, v1
	v_add_co_u32 v14, vcc_lo, s2, v14
	v_ashrrev_i32_e32 v19, 31, v18
	v_add_co_ci_u32_e32 v15, vcc_lo, s3, v15, vcc_lo
	v_add_nc_u32_e32 v27, 0x880, v1
	v_add_co_u32 v16, vcc_lo, s2, v16
	v_ashrrev_i32_e32 v24, 31, v23
	v_add_co_ci_u32_e32 v17, vcc_lo, s3, v17, vcc_lo
	v_lshlrev_b64 v[25:26], 2, v[18:19]
	s_clause 0x7
	global_load_b32 v34, v[6:7], off
	global_load_b32 v33, v[2:3], off
	;; [unrolled: 1-line block ×8, first 2 shown]
	v_add_nc_u32_e32 v4, 0x8c0, v1
	v_ashrrev_i32_e32 v28, 31, v27
	v_add_nc_u32_e32 v10, 0x900, v1
	v_lshlrev_b64 v[2:3], 2, v[23:24]
	v_add_nc_u32_e32 v12, 0x940, v1
	v_ashrrev_i32_e32 v5, 31, v4
	v_add_co_u32 v6, vcc_lo, s2, v25
	v_lshlrev_b64 v[8:9], 2, v[27:28]
	v_ashrrev_i32_e32 v11, 31, v10
	v_add_co_ci_u32_e32 v7, vcc_lo, s3, v26, vcc_lo
	v_add_nc_u32_e32 v14, 0x980, v1
	v_add_co_u32 v2, vcc_lo, s2, v2
	v_lshlrev_b64 v[4:5], 2, v[4:5]
	v_ashrrev_i32_e32 v13, 31, v12
	v_add_co_ci_u32_e32 v3, vcc_lo, s3, v3, vcc_lo
	v_add_nc_u32_e32 v16, 0x9c0, v1
	v_add_co_u32 v8, vcc_lo, s2, v8
	v_lshlrev_b64 v[10:11], 2, v[10:11]
	v_ashrrev_i32_e32 v15, 31, v14
	v_add_co_ci_u32_e32 v9, vcc_lo, s3, v9, vcc_lo
	v_add_co_u32 v4, vcc_lo, s2, v4
	v_lshlrev_b64 v[12:13], 2, v[12:13]
	v_ashrrev_i32_e32 v17, 31, v16
	v_add_co_ci_u32_e32 v5, vcc_lo, s3, v5, vcc_lo
	v_add_co_u32 v10, vcc_lo, s2, v10
	v_lshlrev_b64 v[14:15], 2, v[14:15]
	v_add_co_ci_u32_e32 v11, vcc_lo, s3, v11, vcc_lo
	v_add_nc_u32_e32 v23, 0xa00, v1
	v_add_co_u32 v12, vcc_lo, s2, v12
	v_lshlrev_b64 v[16:17], 2, v[16:17]
	v_add_co_ci_u32_e32 v13, vcc_lo, s3, v13, vcc_lo
	v_add_nc_u32_e32 v25, 0xa40, v1
	v_add_co_u32 v14, vcc_lo, s2, v14
	v_ashrrev_i32_e32 v24, 31, v23
	v_add_co_ci_u32_e32 v15, vcc_lo, s3, v15, vcc_lo
	v_add_nc_u32_e32 v27, 0xa80, v1
	v_add_co_u32 v16, vcc_lo, s2, v16
	v_ashrrev_i32_e32 v26, 31, v25
	v_add_co_ci_u32_e32 v17, vcc_lo, s3, v17, vcc_lo
	s_clause 0x7
	global_load_b32 v54, v[6:7], off
	global_load_b32 v53, v[2:3], off
	;; [unrolled: 1-line block ×8, first 2 shown]
	v_add_nc_u32_e32 v4, 0xac0, v1
	v_lshlrev_b64 v[23:24], 2, v[23:24]
	v_ashrrev_i32_e32 v28, 31, v27
	v_add_nc_u32_e32 v10, 0xb00, v1
	v_lshlrev_b64 v[2:3], 2, v[25:26]
	v_ashrrev_i32_e32 v5, 31, v4
	v_add_nc_u32_e32 v12, 0xb40, v1
	v_add_co_u32 v6, vcc_lo, s2, v23
	v_lshlrev_b64 v[8:9], 2, v[27:28]
	v_ashrrev_i32_e32 v11, 31, v10
	v_add_co_ci_u32_e32 v7, vcc_lo, s3, v24, vcc_lo
	v_add_nc_u32_e32 v14, 0xb80, v1
	v_add_co_u32 v2, vcc_lo, s2, v2
	v_lshlrev_b64 v[4:5], 2, v[4:5]
	v_ashrrev_i32_e32 v13, 31, v12
	v_add_co_ci_u32_e32 v3, vcc_lo, s3, v3, vcc_lo
	;; [unrolled: 5-line block ×3, first 2 shown]
	v_add_co_u32 v4, vcc_lo, s2, v4
	v_lshlrev_b64 v[12:13], 2, v[12:13]
	v_ashrrev_i32_e32 v17, 31, v16
	v_add_co_ci_u32_e32 v5, vcc_lo, s3, v5, vcc_lo
	v_add_co_u32 v10, vcc_lo, s2, v10
	v_lshlrev_b64 v[14:15], 2, v[14:15]
	v_add_co_ci_u32_e32 v11, vcc_lo, s3, v11, vcc_lo
	v_add_nc_u32_e32 v23, 0xc00, v1
	v_add_co_u32 v12, vcc_lo, s2, v12
	v_lshlrev_b64 v[16:17], 2, v[16:17]
	v_add_co_ci_u32_e32 v13, vcc_lo, s3, v13, vcc_lo
	v_add_nc_u32_e32 v25, 0xc40, v1
	v_add_co_u32 v14, vcc_lo, s2, v14
	v_ashrrev_i32_e32 v24, 31, v23
	v_add_co_ci_u32_e32 v15, vcc_lo, s3, v15, vcc_lo
	v_add_nc_u32_e32 v71, 0xc80, v1
	v_add_co_u32 v16, vcc_lo, s2, v16
	v_ashrrev_i32_e32 v26, 31, v25
	v_add_co_ci_u32_e32 v17, vcc_lo, s3, v17, vcc_lo
	s_clause 0x7
	global_load_b32 v42, v[6:7], off
	global_load_b32 v41, v[2:3], off
	;; [unrolled: 1-line block ×8, first 2 shown]
	v_add_nc_u32_e32 v4, 0xcc0, v1
	v_lshlrev_b64 v[23:24], 2, v[23:24]
	v_ashrrev_i32_e32 v72, 31, v71
	v_add_nc_u32_e32 v10, 0xd00, v1
	v_lshlrev_b64 v[2:3], 2, v[25:26]
	v_ashrrev_i32_e32 v5, 31, v4
	v_add_nc_u32_e32 v12, 0xd40, v1
	v_add_co_u32 v6, vcc_lo, s2, v23
	v_lshlrev_b64 v[8:9], 2, v[71:72]
	v_ashrrev_i32_e32 v11, 31, v10
	v_add_co_ci_u32_e32 v7, vcc_lo, s3, v24, vcc_lo
	v_add_nc_u32_e32 v14, 0xd80, v1
	v_add_co_u32 v2, vcc_lo, s2, v2
	v_lshlrev_b64 v[4:5], 2, v[4:5]
	v_ashrrev_i32_e32 v13, 31, v12
	v_add_co_ci_u32_e32 v3, vcc_lo, s3, v3, vcc_lo
	v_add_co_u32 v8, vcc_lo, s2, v8
	v_lshlrev_b64 v[10:11], 2, v[10:11]
	v_ashrrev_i32_e32 v15, 31, v14
	v_add_co_ci_u32_e32 v9, vcc_lo, s3, v9, vcc_lo
	v_add_co_u32 v4, vcc_lo, s2, v4
	v_lshlrev_b64 v[12:13], 2, v[12:13]
	v_add_nc_u32_e32 v16, 0xdc0, v1
	v_add_co_ci_u32_e32 v5, vcc_lo, s3, v5, vcc_lo
	v_add_co_u32 v10, vcc_lo, s2, v10
	v_lshlrev_b64 v[14:15], 2, v[14:15]
	v_add_co_ci_u32_e32 v11, vcc_lo, s3, v11, vcc_lo
	v_ashrrev_i32_e32 v17, 31, v16
	v_add_co_u32 v12, vcc_lo, s2, v12
	v_add_co_ci_u32_e32 v13, vcc_lo, s3, v13, vcc_lo
	v_add_nc_u32_e32 v23, 0xe00, v1
	v_add_co_u32 v71, vcc_lo, s2, v14
	v_lshlrev_b64 v[16:17], 2, v[16:17]
	v_add_co_ci_u32_e32 v72, vcc_lo, s3, v15, vcc_lo
	v_add_nc_u32_e32 v15, 0xe40, v1
	v_ashrrev_i32_e32 v24, 31, v23
	v_add_nc_u32_e32 v75, 0xe80, v1
	v_add_co_u32 v73, vcc_lo, s2, v16
	s_delay_alu instid0(VALU_DEP_4)
	v_ashrrev_i32_e32 v16, 31, v15
	v_add_co_ci_u32_e32 v74, vcc_lo, s3, v17, vcc_lo
	v_lshlrev_b64 v[17:18], 2, v[23:24]
	s_clause 0x7
	global_load_b32 v26, v[6:7], off
	global_load_b32 v25, v[2:3], off
	;; [unrolled: 1-line block ×8, first 2 shown]
	v_add_nc_u32_e32 v4, 0xec0, v1
	v_ashrrev_i32_e32 v76, 31, v75
	v_lshlrev_b64 v[2:3], 2, v[15:16]
	v_add_nc_u32_e32 v15, 0xf00, v1
	v_add_co_u32 v6, vcc_lo, s2, v17
	v_ashrrev_i32_e32 v5, 31, v4
	v_lshlrev_b64 v[8:9], 2, v[75:76]
	s_delay_alu instid0(VALU_DEP_4)
	v_ashrrev_i32_e32 v16, 31, v15
	v_add_co_ci_u32_e32 v7, vcc_lo, s3, v18, vcc_lo
	v_add_co_u32 v2, vcc_lo, s2, v2
	v_lshlrev_b64 v[4:5], 2, v[4:5]
	v_add_nc_u32_e32 v17, 0xf40, v1
	v_add_nc_u32_e32 v71, 0xf80, v1
	v_add_co_ci_u32_e32 v3, vcc_lo, s3, v3, vcc_lo
	v_add_co_u32 v8, vcc_lo, s2, v8
	v_lshlrev_b64 v[15:16], 2, v[15:16]
	v_add_co_ci_u32_e32 v9, vcc_lo, s3, v9, vcc_lo
	v_ashrrev_i32_e32 v18, 31, v17
	v_add_co_u32 v4, vcc_lo, s2, v4
	v_ashrrev_i32_e32 v72, 31, v71
	v_add_co_ci_u32_e32 v5, vcc_lo, s3, v5, vcc_lo
	v_add_nc_u32_e32 v73, 0xfc0, v1
	v_add_co_u32 v75, vcc_lo, s2, v15
	v_lshlrev_b64 v[17:18], 2, v[17:18]
	v_add_co_ci_u32_e32 v76, vcc_lo, s3, v16, vcc_lo
	v_lshlrev_b64 v[15:16], 2, v[71:72]
	v_lshl_add_u32 v71, s19, 6, v0
	v_ashrrev_i32_e32 v74, 31, v73
	v_add_co_u32 v77, vcc_lo, s2, v17
	v_add_co_ci_u32_e32 v78, vcc_lo, s3, v18, vcc_lo
	s_delay_alu instid0(VALU_DEP_4) | instskip(NEXT) | instid1(VALU_DEP_4)
	v_ashrrev_i32_e32 v72, 31, v71
	v_lshlrev_b64 v[17:18], 2, v[73:74]
	v_add_co_u32 v73, vcc_lo, s2, v15
	v_add_co_ci_u32_e32 v74, vcc_lo, s3, v16, vcc_lo
	s_delay_alu instid0(VALU_DEP_4) | instskip(NEXT) | instid1(VALU_DEP_4)
	v_lshlrev_b64 v[15:16], 2, v[71:72]
	v_add_co_u32 v79, vcc_lo, s2, v17
	v_add_co_ci_u32_e32 v80, vcc_lo, s3, v18, vcc_lo
	s_abs_i32 s2, s16
	s_delay_alu instid0(VALU_DEP_3) | instskip(NEXT) | instid1(VALU_DEP_4)
	v_add_co_u32 v81, vcc_lo, s14, v15
	v_add_co_ci_u32_e32 v82, vcc_lo, s15, v16, vcc_lo
	s_clause 0x7
	global_load_b32 v18, v[6:7], off
	global_load_b32 v17, v[2:3], off
	;; [unrolled: 1-line block ×8, first 2 shown]
	s_waitcnt vmcnt(0)
	s_barrier
	buffer_gl0_inv
	global_load_b32 v6, v[81:82], off
	v_cvt_f32_u32_e32 v2, s2
	s_sub_i32 s6, 0, s2
	v_lshlrev_b32_e32 v0, 2, v0
	s_delay_alu instid0(VALU_DEP_2) | instskip(SKIP_2) | instid1(VALU_DEP_1)
	v_rcp_iflag_f32_e32 v2, v2
	s_waitcnt_depctr 0xfff
	v_mul_f32_e32 v2, 0x4f7ffffe, v2
	v_cvt_u32_f32_e32 v2, v2
	s_delay_alu instid0(VALU_DEP_1) | instskip(NEXT) | instid1(VALU_DEP_1)
	v_readfirstlane_b32 s3, v2
	s_mul_i32 s6, s6, s3
	s_delay_alu instid0(SALU_CYCLE_1) | instskip(NEXT) | instid1(SALU_CYCLE_1)
	s_mul_hi_u32 s6, s3, s6
	s_add_i32 s3, s3, s6
	s_xor_b32 s6, s17, s16
	s_mul_hi_u32 s3, s7, s3
	s_ashr_i32 s6, s6, 31
	s_mul_i32 s14, s3, s2
	s_delay_alu instid0(SALU_CYCLE_1)
	s_sub_i32 s7, s7, s14
	s_add_i32 s14, s3, 1
	s_sub_i32 s15, s7, s2
	s_cmp_ge_u32 s7, s2
	s_cselect_b32 s3, s14, s3
	s_cselect_b32 s7, s15, s7
	s_add_i32 s14, s3, 1
	s_cmp_ge_u32 s7, s2
	s_mov_b32 s7, exec_lo
	s_cselect_b32 s2, s14, s3
	s_delay_alu instid0(SALU_CYCLE_1) | instskip(NEXT) | instid1(SALU_CYCLE_1)
	s_xor_b32 s2, s2, s6
	s_sub_i32 s2, s2, s6
	s_mov_b32 s6, 0
	s_mul_i32 s2, s2, s18
	s_delay_alu instid0(SALU_CYCLE_1) | instskip(SKIP_1) | instid1(SALU_CYCLE_1)
	v_mad_u64_u32 v[2:3], null, s2, s20, v[71:72]
	s_add_i32 s20, s20, 1
	v_mad_u64_u32 v[4:5], null, s2, s20, v[71:72]
	s_waitcnt vmcnt(0)
	ds_store_b32 v0, v6 offset:768
	s_waitcnt lgkmcnt(0)
	s_barrier
	buffer_gl0_inv
	v_cmpx_lt_i32_e64 v2, v4
	s_cbranch_execz .LBB0_4
; %bb.1:
	v_ashrrev_i32_e32 v3, 31, v2
	v_add_nc_u32_e32 v71, 0x100, v0
	v_add_nc_u32_e32 v72, 0x200, v0
	s_ashr_i32 s19, s18, 31
	s_delay_alu instid0(SALU_CYCLE_1)
	s_lshl_b64 s[2:3], s[18:19], 2
	v_lshlrev_b64 v[5:6], 2, v[2:3]
	v_mov_b32_e32 v3, 0
.LBB0_2:                                ; =>This Inner Loop Header: Depth=1
	s_delay_alu instid0(VALU_DEP_2) | instskip(NEXT) | instid1(VALU_DEP_3)
	v_add_co_u32 v73, vcc_lo, s8, v5
	v_add_co_ci_u32_e32 v74, vcc_lo, s9, v6, vcc_lo
	v_add_co_u32 v75, vcc_lo, s12, v5
	v_add_co_ci_u32_e32 v76, vcc_lo, s13, v6, vcc_lo
	;; [unrolled: 2-line block ×3, first 2 shown]
	s_waitcnt_vscnt null, 0x0
	s_barrier
	buffer_gl0_inv
	global_load_b32 v75, v[75:76], off
	global_load_b32 v76, v[73:74], off
	global_load_b32 v77, v[77:78], off
	v_add_co_u32 v73, vcc_lo, s10, v5
	v_add_co_ci_u32_e32 v74, vcc_lo, s11, v6, vcc_lo
	v_dual_mov_b32 v121, v38 :: v_dual_mov_b32 v120, v37
	v_dual_mov_b32 v119, v36 :: v_dual_mov_b32 v118, v35
	;; [unrolled: 1-line block ×28, first 2 shown]
	s_waitcnt vmcnt(2)
	ds_store_b32 v71, v75
	s_waitcnt vmcnt(1)
	ds_store_b32 v0, v76
	;; [unrolled: 2-line block ×3, first 2 shown]
	s_waitcnt lgkmcnt(0)
	s_barrier
	buffer_gl0_inv
	global_load_b32 v73, v[73:74], off
	ds_load_b128 v[11:14], v3
	ds_load_b128 v[15:18], v3 offset:16
	ds_load_b128 v[19:22], v3 offset:32
	;; [unrolled: 1-line block ×14, first 2 shown]
	v_dual_mov_b32 v75, v68 :: v_dual_mov_b32 v74, v67
	v_dual_mov_b32 v77, v70 :: v_dual_mov_b32 v76, v69
	v_add_nc_u32_e32 v2, s18, v2
	s_waitcnt vmcnt(0) lgkmcnt(4)
	v_mul_f32_e32 v47, v73, v38
	v_mul_f32_e32 v48, v73, v37
	v_mul_f32_e32 v61, v73, v20
	v_mul_f32_e32 v60, v73, v21
	s_waitcnt lgkmcnt(1)
	v_mul_f32_e32 v21, v73, v147
	v_mul_f32_e32 v20, v73, v148
	;; [unrolled: 1-line block ×3, first 2 shown]
	v_fma_f32 v147, v61, v52, v96
	s_waitcnt lgkmcnt(0)
	v_fmac_f32_e32 v61, v96, v151
	v_mul_f32_e32 v63, v73, v18
	v_fma_f32 v148, v60, v53, v95
	v_fmac_f32_e32 v60, v95, v152
	v_mul_f32_e32 v64, v73, v17
	v_mul_f32_e32 v58, v73, v31
	;; [unrolled: 1-line block ×4, first 2 shown]
	v_fma_f32 v145, v63, v30, v90
	v_fmac_f32_e32 v63, v90, v46
	v_mul_f32_e32 v67, v73, v14
	v_fma_f32 v144, v64, v29, v91
	v_fmac_f32_e32 v64, v91, v45
	v_mul_f32_e32 v68, v73, v13
	v_mul_f32_e32 v49, v73, v36
	;; [unrolled: 1-line block ×5, first 2 shown]
	v_fma_f32 v141, v67, v26, v74
	v_fmac_f32_e32 v67, v74, v42
	v_mul_f32_e32 v69, v73, v12
	v_fma_f32 v140, v68, v25, v75
	v_fmac_f32_e32 v68, v75, v41
	v_mul_f32_e32 v70, v73, v11
	v_mul_f32_e32 v37, v73, v139
	;; [unrolled: 1-line block ×3, first 2 shown]
	v_fma_f32 v139, v69, v24, v76
	ds_load_b128 v[11:14], v3 offset:560
	v_mul_f32_e32 v65, v73, v16
	v_dual_mul_f32 v66, v73, v15 :: v_dual_fmac_f32 v69, v76, v40
	v_fma_f32 v138, v70, v23, v77
	v_fmac_f32_e32 v70, v77, v39
	ds_load_b128 v[23:26], v3 offset:848
	ds_load_b128 v[39:42], v3 offset:592
	;; [unrolled: 1-line block ×3, first 2 shown]
	v_mul_f32_e32 v55, v73, v34
	v_mul_f32_e32 v56, v73, v33
	;; [unrolled: 1-line block ×4, first 2 shown]
	ds_load_b128 v[15:18], v3 offset:832
	v_fma_f32 v143, v65, v28, v92
	v_fmac_f32_e32 v65, v92, v44
	v_fma_f32 v142, v66, v27, v93
	v_fmac_f32_e32 v66, v93, v43
	ds_load_b128 v[27:30], v3 offset:576
	ds_load_b128 v[43:46], v3 offset:864
	ds_load_b128 v[90:93], v3 offset:272
	s_waitcnt lgkmcnt(6)
	v_fma_f32 v159, v35, v26, v118
	s_waitcnt lgkmcnt(5)
	v_fmac_f32_e32 v35, v118, v42
	v_mul_f32_e32 v59, v73, v22
	v_fma_f32 v158, v36, v25, v119
	v_fmac_f32_e32 v36, v119, v41
	v_mul_f32_e32 v62, v73, v19
	v_mul_f32_e32 v22, v73, v146
	;; [unrolled: 1-line block ×3, first 2 shown]
	v_fma_f32 v149, v59, v54, v94
	v_fmac_f32_e32 v59, v94, v153
	v_fma_f32 v146, v62, v51, v97
	v_fmac_f32_e32 v62, v97, v150
	;; [unrolled: 2-line block ×5, first 2 shown]
	v_fma_f32 v156, v38, v23, v121
	ds_load_b128 v[23:26], v3 offset:144
	v_fmac_f32_e32 v38, v121, v39
	s_waitcnt lgkmcnt(2)
	v_fma_f32 v121, v31, v46, v114
	v_fmac_f32_e32 v31, v114, v77
	v_fma_f32 v120, v32, v45, v115
	v_fmac_f32_e32 v32, v115, v76
	;; [unrolled: 2-line block ×4, first 2 shown]
	ds_load_b128 v[11:14], v3 offset:624
	v_fma_f32 v153, v49, v16, v112
	v_fma_f32 v155, v47, v18, v110
	v_fmac_f32_e32 v49, v112, v28
	v_fma_f32 v152, v50, v15, v113
	v_fmac_f32_e32 v47, v110, v30
	v_fma_f32 v154, v48, v17, v111
	ds_load_b128 v[15:18], v3 offset:128
	ds_load_b128 v[51:54], v3 offset:880
	v_fmac_f32_e32 v48, v111, v29
	v_fma_f32 v119, v33, v44, v116
	v_fmac_f32_e32 v33, v116, v75
	v_fma_f32 v118, v34, v43, v117
	ds_load_b128 v[104:107], v3 offset:192
	s_waitcnt lgkmcnt(4)
	v_mul_f32_e32 v43, v73, v26
	v_fmac_f32_e32 v50, v113, v27
	ds_load_b128 v[27:30], v3 offset:256
	v_fmac_f32_e32 v34, v117, v74
	ds_load_b128 v[94:97], v3 offset:160
	ds_load_b128 v[74:77], v3 offset:176
	;; [unrolled: 1-line block ×3, first 2 shown]
	v_mul_f32_e32 v46, v73, v23
	v_mul_f32_e32 v45, v73, v24
	;; [unrolled: 1-line block ×3, first 2 shown]
	ds_load_b128 v[114:117], v3 offset:224
	v_add_co_u32 v135, vcc_lo, s4, v5
	v_add_co_ci_u32_e32 v136, vcc_lo, s5, v6, vcc_lo
	v_add_co_u32 v5, vcc_lo, v5, s2
	v_add_co_ci_u32_e32 v6, vcc_lo, s3, v6, vcc_lo
	s_waitcnt lgkmcnt(5)
	v_mul_f32_e32 v26, v73, v104
	v_mul_f32_e32 v25, v73, v105
	;; [unrolled: 1-line block ×4, first 2 shown]
	ds_load_b128 v[104:107], v3 offset:912
	v_fma_f32 v163, v19, v54, v126
	v_fmac_f32_e32 v19, v126, v14
	s_waitcnt lgkmcnt(5)
	v_fma_f32 v126, v27, v138, 0
	s_waitcnt lgkmcnt(3)
	v_mul_f32_e32 v27, v73, v77
	v_fma_f32 v162, v20, v53, v131
	v_fmac_f32_e32 v20, v131, v13
	v_mul_f32_e32 v54, v73, v15
	v_fmac_f32_e32 v126, v28, v139
	v_mul_f32_e32 v28, v73, v76
	v_mul_f32_e32 v53, v73, v16
	;; [unrolled: 1-line block ×4, first 2 shown]
	v_fmac_f32_e32 v126, v29, v140
	v_mul_f32_e32 v29, v73, v75
	s_waitcnt lgkmcnt(2)
	v_mul_f32_e32 v14, v73, v110
	v_dual_mul_f32 v13, v73, v111 :: v_dual_mov_b32 v138, v10
	v_fmac_f32_e32 v126, v30, v141
	v_mul_f32_e32 v30, v73, v74
	ds_load_b128 v[74:77], v3 offset:240
	s_waitcnt lgkmcnt(2)
	v_mul_f32_e32 v16, v73, v116
	v_dual_mul_f32 v15, v73, v117 :: v_dual_fmac_f32 v126, v90, v142
	v_mul_f32_e32 v42, v73, v94
	v_dual_mov_b32 v139, v9 :: v_dual_mov_b32 v140, v8
	v_mov_b32_e32 v141, v7
	s_delay_alu instid0(VALU_DEP_4) | instskip(SKIP_1) | instid1(VALU_DEP_2)
	v_fmac_f32_e32 v126, v91, v143
	v_cmp_ge_i32_e32 vcc_lo, v2, v4
	v_fmac_f32_e32 v126, v92, v144
	v_fma_f32 v161, v21, v52, v132
	v_fmac_f32_e32 v21, v132, v12
	v_fma_f32 v160, v22, v51, v133
	v_fmac_f32_e32 v22, v133, v11
	v_mul_f32_e32 v52, v73, v17
	v_mul_f32_e32 v51, v73, v18
	;; [unrolled: 1-line block ×6, first 2 shown]
	s_waitcnt lgkmcnt(0)
	v_mul_f32_e32 v10, v73, v74
	v_mul_f32_e32 v9, v73, v75
	;; [unrolled: 1-line block ×5, first 2 shown]
	ds_load_b128 v[73:76], v3 offset:288
	v_fmac_f32_e32 v126, v93, v145
	ds_load_b128 v[90:93], v3 offset:304
	ds_load_b128 v[94:97], v3 offset:336
	s_or_b32 s6, vcc_lo, s6
	ds_load_b128 v[110:113], v3 offset:368
	ds_load_b128 v[114:117], v3 offset:656
	s_waitcnt lgkmcnt(4)
	v_fmac_f32_e32 v126, v73, v146
	s_delay_alu instid0(VALU_DEP_1) | instskip(NEXT) | instid1(VALU_DEP_1)
	v_fmac_f32_e32 v126, v74, v147
	v_fmac_f32_e32 v126, v75, v148
	s_delay_alu instid0(VALU_DEP_1) | instskip(SKIP_3) | instid1(VALU_DEP_1)
	v_fmac_f32_e32 v126, v76, v149
	ds_load_b128 v[73:76], v3 offset:320
	s_waitcnt lgkmcnt(4)
	v_fmac_f32_e32 v126, v90, v134
	v_fmac_f32_e32 v126, v91, v150
	s_delay_alu instid0(VALU_DEP_1) | instskip(NEXT) | instid1(VALU_DEP_1)
	v_fmac_f32_e32 v126, v92, v151
	v_fmac_f32_e32 v126, v93, v137
	ds_load_b128 v[90:93], v3 offset:896
	s_waitcnt lgkmcnt(1)
	v_fmac_f32_e32 v126, v73, v152
	s_delay_alu instid0(VALU_DEP_1) | instskip(NEXT) | instid1(VALU_DEP_1)
	v_fmac_f32_e32 v126, v74, v153
	v_fmac_f32_e32 v126, v75, v154
	s_delay_alu instid0(VALU_DEP_1) | instskip(SKIP_2) | instid1(VALU_DEP_1)
	v_fmac_f32_e32 v126, v76, v155
	ds_load_b128 v[73:76], v3 offset:352
	v_fmac_f32_e32 v126, v94, v156
	v_fmac_f32_e32 v126, v95, v157
	s_delay_alu instid0(VALU_DEP_1) | instskip(NEXT) | instid1(VALU_DEP_1)
	v_fmac_f32_e32 v126, v96, v158
	v_fmac_f32_e32 v126, v97, v159
	ds_load_b128 v[94:97], v3 offset:640
	s_waitcnt lgkmcnt(1)
	v_fmac_f32_e32 v126, v73, v118
	s_delay_alu instid0(VALU_DEP_1) | instskip(NEXT) | instid1(VALU_DEP_1)
	v_fmac_f32_e32 v126, v74, v119
	v_fmac_f32_e32 v126, v75, v120
	s_delay_alu instid0(VALU_DEP_1) | instskip(SKIP_3) | instid1(VALU_DEP_1)
	v_fmac_f32_e32 v126, v76, v121
	ds_load_b128 v[73:76], v3 offset:384
	ds_load_b128 v[118:121], v3 offset:400
	v_fmac_f32_e32 v126, v110, v160
	v_fmac_f32_e32 v126, v111, v161
	s_delay_alu instid0(VALU_DEP_1) | instskip(NEXT) | instid1(VALU_DEP_1)
	v_fmac_f32_e32 v126, v112, v162
	v_fmac_f32_e32 v126, v113, v163
	ds_load_b128 v[110:113], v3 offset:928
	v_fma_f32 v77, v54, v90, v81
	v_fma_f32 v131, v53, v91, v80
	;; [unrolled: 1-line block ×4, first 2 shown]
	ds_load_b128 v[90:93], v3 offset:944
	s_waitcnt lgkmcnt(3)
	v_fmac_f32_e32 v126, v73, v77
	v_fma_f32 v77, v46, v104, v89
	v_dual_fmac_f32 v54, v81, v94 :: v_dual_fmac_f32 v53, v80, v95
	v_fmac_f32_e32 v52, v79, v96
	s_delay_alu instid0(VALU_DEP_4) | instskip(SKIP_2) | instid1(VALU_DEP_3)
	v_fmac_f32_e32 v126, v74, v131
	v_fma_f32 v131, v45, v105, v88
	v_dual_fmac_f32 v51, v78, v97 :: v_dual_fmac_f32 v46, v89, v114
	v_dual_fmac_f32 v45, v88, v115 :: v_dual_fmac_f32 v126, v75, v132
	v_fma_f32 v132, v44, v106, v85
	s_delay_alu instid0(VALU_DEP_2)
	v_fmac_f32_e32 v126, v76, v133
	ds_load_b128 v[73:76], v3 offset:416
	v_fma_f32 v133, v43, v107, v84
	ds_load_b128 v[104:107], v3 offset:432
	v_fmac_f32_e32 v43, v84, v117
	s_waitcnt lgkmcnt(4)
	v_fmac_f32_e32 v126, v118, v77
	s_waitcnt lgkmcnt(3)
	v_fma_f32 v77, v42, v110, v87
	s_delay_alu instid0(VALU_DEP_2) | instskip(SKIP_1) | instid1(VALU_DEP_2)
	v_fmac_f32_e32 v126, v119, v131
	v_fma_f32 v131, v41, v111, v86
	v_fmac_f32_e32 v126, v120, v132
	v_fma_f32 v132, v40, v112, v83
	s_delay_alu instid0(VALU_DEP_2)
	v_fmac_f32_e32 v126, v121, v133
	v_fma_f32 v133, v39, v113, v82
	ds_load_b128 v[118:121], v3 offset:960
	ds_load_b128 v[110:113], v3 offset:976
	s_waitcnt lgkmcnt(3)
	v_fmac_f32_e32 v126, v73, v77
	v_fma_f32 v77, v30, v90, v101
	s_delay_alu instid0(VALU_DEP_2) | instskip(SKIP_1) | instid1(VALU_DEP_2)
	v_fmac_f32_e32 v126, v74, v131
	v_fma_f32 v131, v29, v91, v100
	v_fmac_f32_e32 v126, v75, v132
	v_fma_f32 v132, v28, v92, v99
	s_delay_alu instid0(VALU_DEP_2)
	v_fmac_f32_e32 v126, v76, v133
	ds_load_b128 v[73:76], v3 offset:448
	v_fma_f32 v133, v27, v93, v98
	ds_load_b128 v[90:93], v3 offset:464
	s_waitcnt lgkmcnt(4)
	v_fmac_f32_e32 v126, v104, v77
	s_waitcnt lgkmcnt(3)
	v_fma_f32 v77, v26, v118, v109
	s_delay_alu instid0(VALU_DEP_2) | instskip(SKIP_1) | instid1(VALU_DEP_2)
	v_fmac_f32_e32 v126, v105, v131
	v_fma_f32 v131, v25, v119, v108
	v_fmac_f32_e32 v126, v106, v132
	v_fma_f32 v132, v24, v120, v103
	s_delay_alu instid0(VALU_DEP_2)
	v_fmac_f32_e32 v126, v107, v133
	v_fma_f32 v133, v23, v121, v102
	ds_load_b128 v[104:107], v3 offset:672
	ds_load_b128 v[118:121], v3 offset:688
	s_waitcnt lgkmcnt(3)
	v_fmac_f32_e32 v126, v73, v77
	s_delay_alu instid0(VALU_DEP_1) | instskip(NEXT) | instid1(VALU_DEP_1)
	v_fmac_f32_e32 v126, v74, v131
	v_fmac_f32_e32 v126, v75, v132
	s_delay_alu instid0(VALU_DEP_1)
	v_fmac_f32_e32 v126, v76, v133
	ds_load_b128 v[73:76], v3 offset:992
	v_fma_f32 v77, v14, v110, v125
	ds_load_b128 v[131:134], v3 offset:480
	v_fma_f32 v81, v13, v111, v124
	v_fma_f32 v94, v12, v112, v123
	s_waitcnt lgkmcnt(3)
	v_fmac_f32_e32 v42, v87, v104
	v_fmac_f32_e32 v126, v90, v77
	ds_load_b128 v[77:80], v3 offset:704
	v_fmac_f32_e32 v41, v86, v105
	s_waitcnt lgkmcnt(3)
	v_dual_fmac_f32 v39, v82, v107 :: v_dual_fmac_f32 v30, v101, v118
	v_fmac_f32_e32 v126, v91, v81
	ds_load_b128 v[88:91], v3 offset:720
	v_fma_f32 v81, v11, v113, v122
	ds_load_b128 v[110:113], v3 offset:496
	v_fmac_f32_e32 v29, v100, v119
	v_fmac_f32_e32 v126, v92, v94
	ds_load_b128 v[94:97], v3 offset:1008
	v_dual_fmac_f32 v28, v99, v120 :: v_dual_fmac_f32 v27, v98, v121
	s_waitcnt lgkmcnt(5)
	v_fma_f32 v73, v18, v73, v130
	v_fmac_f32_e32 v126, v93, v81
	v_fma_f32 v74, v17, v74, v129
	s_waitcnt lgkmcnt(4)
	s_delay_alu instid0(VALU_DEP_2)
	v_fmac_f32_e32 v126, v131, v73
	v_fma_f32 v73, v16, v75, v128
	s_waitcnt lgkmcnt(3)
	v_dual_fmac_f32 v26, v109, v77 :: v_dual_fmac_f32 v25, v108, v78
	v_fmac_f32_e32 v24, v103, v79
	v_fmac_f32_e32 v126, v132, v74
	v_fma_f32 v74, v15, v76, v127
	s_waitcnt lgkmcnt(2)
	v_dual_fmac_f32 v11, v122, v91 :: v_dual_fmac_f32 v44, v85, v116
	ds_load_b128 v[114:117], v3 offset:736
	ds_load_b128 v[84:87], v3 offset:752
	v_fmac_f32_e32 v126, v133, v73
	s_waitcnt lgkmcnt(2)
	v_fma_f32 v73, v10, v94, v138
	v_fmac_f32_e32 v23, v102, v80
	v_dual_fmac_f32 v14, v125, v88 :: v_dual_fmac_f32 v13, v124, v89
	v_fmac_f32_e32 v126, v134, v74
	v_fma_f32 v74, v9, v95, v139
	v_fmac_f32_e32 v12, v123, v90
	s_delay_alu instid0(VALU_DEP_3) | instskip(SKIP_1) | instid1(VALU_DEP_2)
	v_fmac_f32_e32 v126, v110, v73
	v_fma_f32 v73, v8, v96, v140
	v_fmac_f32_e32 v126, v111, v74
	v_fma_f32 v74, v7, v97, v141
	s_waitcnt lgkmcnt(1)
	v_dual_fmac_f32 v18, v130, v114 :: v_dual_fmac_f32 v17, v129, v115
	s_delay_alu instid0(VALU_DEP_3)
	v_fmac_f32_e32 v126, v112, v73
	v_dual_fmac_f32 v16, v128, v116 :: v_dual_fmac_f32 v15, v127, v117
	s_waitcnt lgkmcnt(0)
	v_dual_fmac_f32 v10, v138, v84 :: v_dual_fmac_f32 v9, v139, v85
	v_fmac_f32_e32 v40, v83, v106
	v_fmac_f32_e32 v8, v140, v86
	;; [unrolled: 1-line block ×4, first 2 shown]
	global_store_b32 v[135:136], v126, off
	s_and_not1_b32 exec_lo, exec_lo, s6
	s_cbranch_execnz .LBB0_2
; %bb.3:
	s_or_b32 exec_lo, exec_lo, s6
.LBB0_4:
	s_delay_alu instid0(SALU_CYCLE_1) | instskip(SKIP_1) | instid1(VALU_DEP_1)
	s_or_b32 exec_lo, exec_lo, s7
	v_mad_u64_u32 v[2:3], null, s18, s17, v[1:2]
	v_ashrrev_i32_e32 v3, 31, v2
	v_add_nc_u32_e32 v5, 0x440, v2
	v_add_nc_u32_e32 v0, 0x400, v2
	;; [unrolled: 1-line block ×3, first 2 shown]
	s_delay_alu instid0(VALU_DEP_4) | instskip(NEXT) | instid1(VALU_DEP_4)
	v_lshlrev_b64 v[3:4], 2, v[2:3]
	v_ashrrev_i32_e32 v6, 31, v5
	s_delay_alu instid0(VALU_DEP_4) | instskip(NEXT) | instid1(VALU_DEP_4)
	v_ashrrev_i32_e32 v1, 31, v0
	v_ashrrev_i32_e32 v72, 31, v71
	s_delay_alu instid0(VALU_DEP_4) | instskip(SKIP_1) | instid1(VALU_DEP_4)
	v_add_co_u32 v3, vcc_lo, s4, v3
	v_add_co_ci_u32_e32 v4, vcc_lo, s5, v4, vcc_lo
	v_lshlrev_b64 v[0:1], 2, v[0:1]
	s_clause 0xf
	global_store_b32 v[3:4], v70, off
	global_store_b32 v[3:4], v69, off offset:256
	global_store_b32 v[3:4], v68, off offset:512
	;; [unrolled: 1-line block ×15, first 2 shown]
	v_lshlrev_b64 v[3:4], 2, v[5:6]
	v_add_nc_u32_e32 v5, 0x4c0, v2
	v_add_nc_u32_e32 v57, 0x500, v2
	;; [unrolled: 1-line block ×3, first 2 shown]
	v_add_co_u32 v0, vcc_lo, s4, v0
	s_delay_alu instid0(VALU_DEP_4)
	v_ashrrev_i32_e32 v6, 31, v5
	v_lshlrev_b64 v[55:56], 2, v[71:72]
	v_ashrrev_i32_e32 v58, 31, v57
	v_add_co_ci_u32_e32 v1, vcc_lo, s5, v1, vcc_lo
	v_add_nc_u32_e32 v61, 0x580, v2
	v_add_co_u32 v3, vcc_lo, s4, v3
	v_lshlrev_b64 v[5:6], 2, v[5:6]
	v_ashrrev_i32_e32 v60, 31, v59
	v_add_co_ci_u32_e32 v4, vcc_lo, s5, v4, vcc_lo
	v_add_nc_u32_e32 v63, 0x5c0, v2
	v_add_co_u32 v55, vcc_lo, s4, v55
	v_lshlrev_b64 v[57:58], 2, v[57:58]
	v_ashrrev_i32_e32 v62, 31, v61
	v_add_co_ci_u32_e32 v56, vcc_lo, s5, v56, vcc_lo
	v_add_co_u32 v5, vcc_lo, s4, v5
	v_lshlrev_b64 v[59:60], 2, v[59:60]
	v_ashrrev_i32_e32 v64, 31, v63
	v_add_co_ci_u32_e32 v6, vcc_lo, s5, v6, vcc_lo
	v_add_co_u32 v57, vcc_lo, s4, v57
	v_lshlrev_b64 v[61:62], 2, v[61:62]
	v_add_co_ci_u32_e32 v58, vcc_lo, s5, v58, vcc_lo
	v_add_nc_u32_e32 v65, 0x600, v2
	v_add_co_u32 v59, vcc_lo, s4, v59
	v_lshlrev_b64 v[63:64], 2, v[63:64]
	v_add_co_ci_u32_e32 v60, vcc_lo, s5, v60, vcc_lo
	v_add_nc_u32_e32 v67, 0x640, v2
	v_add_co_u32 v61, vcc_lo, s4, v61
	v_ashrrev_i32_e32 v66, 31, v65
	v_add_co_ci_u32_e32 v62, vcc_lo, s5, v62, vcc_lo
	v_add_nc_u32_e32 v69, 0x680, v2
	v_add_co_u32 v63, vcc_lo, s4, v63
	v_ashrrev_i32_e32 v68, 31, v67
	v_add_co_ci_u32_e32 v64, vcc_lo, s5, v64, vcc_lo
	s_clause 0x7
	global_store_b32 v[0:1], v50, off
	global_store_b32 v[3:4], v49, off
	global_store_b32 v[55:56], v48, off
	global_store_b32 v[5:6], v47, off
	global_store_b32 v[57:58], v38, off
	global_store_b32 v[59:60], v37, off
	global_store_b32 v[61:62], v36, off
	global_store_b32 v[63:64], v35, off
	v_add_nc_u32_e32 v3, 0x6c0, v2
	v_lshlrev_b64 v[65:66], 2, v[65:66]
	v_ashrrev_i32_e32 v70, 31, v69
	v_add_nc_u32_e32 v37, 0x700, v2
	v_lshlrev_b64 v[0:1], 2, v[67:68]
	v_ashrrev_i32_e32 v4, 31, v3
	v_add_nc_u32_e32 v47, 0x740, v2
	v_add_co_u32 v5, vcc_lo, s4, v65
	v_lshlrev_b64 v[35:36], 2, v[69:70]
	v_ashrrev_i32_e32 v38, 31, v37
	v_add_co_ci_u32_e32 v6, vcc_lo, s5, v66, vcc_lo
	v_add_nc_u32_e32 v49, 0x780, v2
	v_add_co_u32 v0, vcc_lo, s4, v0
	v_lshlrev_b64 v[3:4], 2, v[3:4]
	v_ashrrev_i32_e32 v48, 31, v47
	v_add_co_ci_u32_e32 v1, vcc_lo, s5, v1, vcc_lo
	v_add_nc_u32_e32 v55, 0x7c0, v2
	v_add_co_u32 v35, vcc_lo, s4, v35
	v_lshlrev_b64 v[37:38], 2, v[37:38]
	v_ashrrev_i32_e32 v50, 31, v49
	v_add_co_ci_u32_e32 v36, vcc_lo, s5, v36, vcc_lo
	v_add_co_u32 v3, vcc_lo, s4, v3
	v_lshlrev_b64 v[47:48], 2, v[47:48]
	v_ashrrev_i32_e32 v56, 31, v55
	v_add_co_ci_u32_e32 v4, vcc_lo, s5, v4, vcc_lo
	v_add_co_u32 v37, vcc_lo, s4, v37
	v_lshlrev_b64 v[49:50], 2, v[49:50]
	v_add_co_ci_u32_e32 v38, vcc_lo, s5, v38, vcc_lo
	v_add_nc_u32_e32 v57, 0x800, v2
	v_add_co_u32 v47, vcc_lo, s4, v47
	v_lshlrev_b64 v[55:56], 2, v[55:56]
	v_add_co_ci_u32_e32 v48, vcc_lo, s5, v48, vcc_lo
	v_add_nc_u32_e32 v59, 0x840, v2
	v_add_co_u32 v49, vcc_lo, s4, v49
	v_ashrrev_i32_e32 v58, 31, v57
	v_add_co_ci_u32_e32 v50, vcc_lo, s5, v50, vcc_lo
	v_add_nc_u32_e32 v61, 0x880, v2
	v_add_co_u32 v55, vcc_lo, s4, v55
	v_ashrrev_i32_e32 v60, 31, v59
	v_add_co_ci_u32_e32 v56, vcc_lo, s5, v56, vcc_lo
	s_clause 0x7
	global_store_b32 v[5:6], v34, off
	global_store_b32 v[0:1], v33, off
	global_store_b32 v[35:36], v32, off
	global_store_b32 v[3:4], v31, off
	global_store_b32 v[37:38], v22, off
	global_store_b32 v[47:48], v21, off
	global_store_b32 v[49:50], v20, off
	global_store_b32 v[55:56], v19, off
	v_add_nc_u32_e32 v3, 0x8c0, v2
	v_lshlrev_b64 v[57:58], 2, v[57:58]
	v_ashrrev_i32_e32 v62, 31, v61
	v_add_nc_u32_e32 v21, 0x900, v2
	v_lshlrev_b64 v[0:1], 2, v[59:60]
	v_ashrrev_i32_e32 v4, 31, v3
	v_add_nc_u32_e32 v31, 0x940, v2
	v_add_co_u32 v5, vcc_lo, s4, v57
	;; [unrolled: 49-line block ×5, first 2 shown]
	v_lshlrev_b64 v[11:12], 2, v[37:38]
	v_ashrrev_i32_e32 v14, 31, v13
	v_add_co_ci_u32_e32 v6, vcc_lo, s5, v34, vcc_lo
	v_add_nc_u32_e32 v21, 0xf80, v2
	v_add_co_u32 v0, vcc_lo, s4, v0
	v_lshlrev_b64 v[3:4], 2, v[3:4]
	v_ashrrev_i32_e32 v20, 31, v19
	v_add_co_ci_u32_e32 v1, vcc_lo, s5, v1, vcc_lo
	v_add_nc_u32_e32 v23, 0xfc0, v2
	v_add_co_u32 v11, vcc_lo, s4, v11
	v_lshlrev_b64 v[13:14], 2, v[13:14]
	v_ashrrev_i32_e32 v22, 31, v21
	v_add_co_ci_u32_e32 v12, vcc_lo, s5, v12, vcc_lo
	v_add_co_u32 v3, vcc_lo, s4, v3
	v_lshlrev_b64 v[19:20], 2, v[19:20]
	v_ashrrev_i32_e32 v24, 31, v23
	v_add_co_ci_u32_e32 v4, vcc_lo, s5, v4, vcc_lo
	v_add_co_u32 v13, vcc_lo, s4, v13
	v_lshlrev_b64 v[21:22], 2, v[21:22]
	v_add_co_ci_u32_e32 v14, vcc_lo, s5, v14, vcc_lo
	v_add_co_u32 v19, vcc_lo, s4, v19
	v_lshlrev_b64 v[23:24], 2, v[23:24]
	v_add_co_ci_u32_e32 v20, vcc_lo, s5, v20, vcc_lo
	v_add_co_u32 v21, vcc_lo, s4, v21
	v_add_co_ci_u32_e32 v22, vcc_lo, s5, v22, vcc_lo
	s_delay_alu instid0(VALU_DEP_4)
	v_add_co_u32 v23, vcc_lo, s4, v23
	v_add_co_ci_u32_e32 v24, vcc_lo, s5, v24, vcc_lo
	s_clause 0x7
	global_store_b32 v[5:6], v18, off
	global_store_b32 v[0:1], v17, off
	;; [unrolled: 1-line block ×8, first 2 shown]
	s_nop 0
	s_sendmsg sendmsg(MSG_DEALLOC_VGPRS)
	s_endpgm
	.section	.rodata,"a",@progbits
	.p2align	6, 0x0
	.amdhsa_kernel _ZL12rwkv_wkv_f32ILi64EEviiiiPKfS1_S1_S1_S1_S1_Pf
		.amdhsa_group_segment_fixed_size 1024
		.amdhsa_private_segment_fixed_size 0
		.amdhsa_kernarg_size 72
		.amdhsa_user_sgpr_count 15
		.amdhsa_user_sgpr_dispatch_ptr 0
		.amdhsa_user_sgpr_queue_ptr 0
		.amdhsa_user_sgpr_kernarg_segment_ptr 1
		.amdhsa_user_sgpr_dispatch_id 0
		.amdhsa_user_sgpr_private_segment_size 0
		.amdhsa_wavefront_size32 1
		.amdhsa_uses_dynamic_stack 0
		.amdhsa_enable_private_segment 0
		.amdhsa_system_sgpr_workgroup_id_x 1
		.amdhsa_system_sgpr_workgroup_id_y 0
		.amdhsa_system_sgpr_workgroup_id_z 0
		.amdhsa_system_sgpr_workgroup_info 0
		.amdhsa_system_vgpr_workitem_id 0
		.amdhsa_next_free_vgpr 164
		.amdhsa_next_free_sgpr 21
		.amdhsa_reserve_vcc 1
		.amdhsa_float_round_mode_32 0
		.amdhsa_float_round_mode_16_64 0
		.amdhsa_float_denorm_mode_32 3
		.amdhsa_float_denorm_mode_16_64 3
		.amdhsa_dx10_clamp 1
		.amdhsa_ieee_mode 1
		.amdhsa_fp16_overflow 0
		.amdhsa_workgroup_processor_mode 1
		.amdhsa_memory_ordered 1
		.amdhsa_forward_progress 0
		.amdhsa_shared_vgpr_count 0
		.amdhsa_exception_fp_ieee_invalid_op 0
		.amdhsa_exception_fp_denorm_src 0
		.amdhsa_exception_fp_ieee_div_zero 0
		.amdhsa_exception_fp_ieee_overflow 0
		.amdhsa_exception_fp_ieee_underflow 0
		.amdhsa_exception_fp_ieee_inexact 0
		.amdhsa_exception_int_div_zero 0
	.end_amdhsa_kernel
	.section	.text._ZL12rwkv_wkv_f32ILi64EEviiiiPKfS1_S1_S1_S1_S1_Pf,"axG",@progbits,_ZL12rwkv_wkv_f32ILi64EEviiiiPKfS1_S1_S1_S1_S1_Pf,comdat
.Lfunc_end0:
	.size	_ZL12rwkv_wkv_f32ILi64EEviiiiPKfS1_S1_S1_S1_S1_Pf, .Lfunc_end0-_ZL12rwkv_wkv_f32ILi64EEviiiiPKfS1_S1_S1_S1_S1_Pf
                                        ; -- End function
	.section	.AMDGPU.csdata,"",@progbits
; Kernel info:
; codeLenInByte = 7264
; NumSgprs: 23
; NumVgprs: 164
; ScratchSize: 0
; MemoryBound: 0
; FloatMode: 240
; IeeeMode: 1
; LDSByteSize: 1024 bytes/workgroup (compile time only)
; SGPRBlocks: 2
; VGPRBlocks: 20
; NumSGPRsForWavesPerEU: 23
; NumVGPRsForWavesPerEU: 164
; Occupancy: 9
; WaveLimiterHint : 1
; COMPUTE_PGM_RSRC2:SCRATCH_EN: 0
; COMPUTE_PGM_RSRC2:USER_SGPR: 15
; COMPUTE_PGM_RSRC2:TRAP_HANDLER: 0
; COMPUTE_PGM_RSRC2:TGID_X_EN: 1
; COMPUTE_PGM_RSRC2:TGID_Y_EN: 0
; COMPUTE_PGM_RSRC2:TGID_Z_EN: 0
; COMPUTE_PGM_RSRC2:TIDIG_COMP_CNT: 0
	.section	.text._ZL12rwkv_wkv_f32ILi128EEviiiiPKfS1_S1_S1_S1_S1_Pf,"axG",@progbits,_ZL12rwkv_wkv_f32ILi128EEviiiiPKfS1_S1_S1_S1_S1_Pf,comdat
	.globl	_ZL12rwkv_wkv_f32ILi128EEviiiiPKfS1_S1_S1_S1_S1_Pf ; -- Begin function _ZL12rwkv_wkv_f32ILi128EEviiiiPKfS1_S1_S1_S1_S1_Pf
	.p2align	8
	.type	_ZL12rwkv_wkv_f32ILi128EEviiiiPKfS1_S1_S1_S1_S1_Pf,@function
_ZL12rwkv_wkv_f32ILi128EEviiiiPKfS1_S1_S1_S1_S1_Pf: ; @_ZL12rwkv_wkv_f32ILi128EEviiiiPKfS1_S1_S1_S1_S1_Pf
; %bb.0:
	s_clause 0x2
	s_load_b128 s[8:11], s[0:1], 0x0
	s_load_b256 s[16:23], s[0:1], 0x10
	s_load_b256 s[0:7], s[0:1], 0x30
	s_abs_i32 s12, s15
	s_waitcnt lgkmcnt(0)
	s_abs_i32 s13, s11
	s_xor_b32 s6, s15, s11
	v_cvt_f32_u32_e32 v1, s13
	s_sub_i32 s14, 0, s13
	s_ashr_i32 s7, s6, 31
	s_mov_b32 s6, 0
	s_delay_alu instid0(VALU_DEP_1) | instskip(SKIP_2) | instid1(VALU_DEP_1)
	v_rcp_iflag_f32_e32 v1, v1
	s_waitcnt_depctr 0xfff
	v_mul_f32_e32 v1, 0x4f7ffffe, v1
	v_cvt_u32_f32_e32 v1, v1
	s_delay_alu instid0(VALU_DEP_1) | instskip(NEXT) | instid1(VALU_DEP_1)
	v_readfirstlane_b32 s24, v1
	s_mul_i32 s14, s14, s24
	s_delay_alu instid0(SALU_CYCLE_1) | instskip(NEXT) | instid1(SALU_CYCLE_1)
	s_mul_hi_u32 s14, s24, s14
	s_add_i32 s24, s24, s14
	s_delay_alu instid0(SALU_CYCLE_1) | instskip(NEXT) | instid1(SALU_CYCLE_1)
	s_mul_hi_u32 s14, s12, s24
	s_mul_i32 s24, s14, s13
	s_delay_alu instid0(SALU_CYCLE_1)
	s_sub_i32 s12, s12, s24
	s_add_i32 s24, s14, 1
	s_sub_i32 s25, s12, s13
	s_cmp_ge_u32 s12, s13
	s_cselect_b32 s14, s24, s14
	s_cselect_b32 s12, s25, s12
	s_add_i32 s24, s14, 1
	s_cmp_ge_u32 s12, s13
	s_cselect_b32 s12, s24, s14
	s_delay_alu instid0(SALU_CYCLE_1) | instskip(NEXT) | instid1(SALU_CYCLE_1)
	s_xor_b32 s12, s12, s7
	s_sub_i32 s7, s12, s7
	s_delay_alu instid0(SALU_CYCLE_1) | instskip(SKIP_4) | instid1(SALU_CYCLE_1)
	s_mul_i32 s11, s7, s11
	s_mul_i32 s12, s10, s7
	s_sub_i32 s11, s15, s11
	s_lshl_b32 s12, s12, 7
	s_lshl_b32 s13, s11, 14
	v_add3_u32 v4, s13, s12, v0
	s_delay_alu instid0(VALU_DEP_1) | instskip(NEXT) | instid1(VALU_DEP_1)
	v_ashrrev_i32_e32 v5, 31, v4
	v_lshlrev_b64 v[1:2], 2, v[4:5]
	s_delay_alu instid0(VALU_DEP_1) | instskip(NEXT) | instid1(VALU_DEP_2)
	v_add_co_u32 v1, vcc_lo, s2, v1
	v_add_co_ci_u32_e32 v2, vcc_lo, s3, v2, vcc_lo
	s_clause 0x7
	global_load_b32 v163, v[1:2], off
	global_load_b32 v162, v[1:2], off offset:512
	global_load_b32 v7, v[1:2], off offset:1024
	;; [unrolled: 1-line block ×7, first 2 shown]
	v_add_nc_u32_e32 v1, 0x400, v4
	s_delay_alu instid0(VALU_DEP_1) | instskip(NEXT) | instid1(VALU_DEP_1)
	v_ashrrev_i32_e32 v2, 31, v1
	v_lshlrev_b64 v[1:2], 2, v[1:2]
	s_delay_alu instid0(VALU_DEP_1) | instskip(NEXT) | instid1(VALU_DEP_2)
	v_add_co_u32 v1, vcc_lo, s2, v1
	v_add_co_ci_u32_e32 v2, vcc_lo, s3, v2, vcc_lo
	global_load_b32 v140, v[1:2], off
	v_add_nc_u32_e32 v1, 0x480, v4
	s_delay_alu instid0(VALU_DEP_1) | instskip(NEXT) | instid1(VALU_DEP_1)
	v_ashrrev_i32_e32 v2, 31, v1
	v_lshlrev_b64 v[1:2], 2, v[1:2]
	s_delay_alu instid0(VALU_DEP_1) | instskip(NEXT) | instid1(VALU_DEP_2)
	v_add_co_u32 v1, vcc_lo, s2, v1
	v_add_co_ci_u32_e32 v2, vcc_lo, s3, v2, vcc_lo
	global_load_b32 v139, v[1:2], off
	;; [unrolled: 8-line block ×119, first 2 shown]
	v_add_nc_u32_e32 v1, 0x3f80, v4
	s_delay_alu instid0(VALU_DEP_1) | instskip(NEXT) | instid1(VALU_DEP_1)
	v_ashrrev_i32_e32 v2, 31, v1
	v_lshlrev_b64 v[1:2], 2, v[1:2]
	s_delay_alu instid0(VALU_DEP_1) | instskip(NEXT) | instid1(VALU_DEP_2)
	v_add_co_u32 v1, vcc_lo, s2, v1
	v_add_co_ci_u32_e32 v2, vcc_lo, s3, v2, vcc_lo
	s_xor_b32 s2, s9, s8
	s_abs_i32 s8, s8
	s_abs_i32 s3, s9
	global_load_b32 v136, v[1:2], off
	v_cvt_f32_u32_e32 v1, s8
	s_waitcnt vmcnt(0)
	s_barrier
	buffer_gl0_inv
	s_sub_i32 s12, 0, s8
	v_rcp_iflag_f32_e32 v1, v1
	s_ashr_i32 s2, s2, 31
	s_waitcnt_depctr 0xfff
	v_mul_f32_e32 v1, 0x4f7ffffe, v1
	s_delay_alu instid0(VALU_DEP_1) | instskip(NEXT) | instid1(VALU_DEP_1)
	v_cvt_u32_f32_e32 v1, v1
	v_readfirstlane_b32 s13, v1
	v_lshl_add_u32 v1, s11, 7, v0
	v_lshlrev_b32_e32 v0, 2, v0
	s_delay_alu instid0(VALU_DEP_3) | instskip(NEXT) | instid1(VALU_DEP_2)
	s_mul_i32 s12, s12, s13
	v_ashrrev_i32_e32 v2, 31, v1
	s_mul_hi_u32 s12, s13, s12
	scratch_store_b32 off, v0, off offset:280 ; 4-byte Folded Spill
	s_add_i32 s13, s13, s12
	v_lshlrev_b64 v[2:3], 2, v[1:2]
	s_mul_hi_u32 s12, s3, s13
	s_delay_alu instid0(SALU_CYCLE_1) | instskip(NEXT) | instid1(SALU_CYCLE_1)
	s_mul_i32 s13, s12, s8
	s_sub_i32 s3, s3, s13
	s_delay_alu instid0(VALU_DEP_1) | instskip(NEXT) | instid1(VALU_DEP_2)
	v_add_co_u32 v2, vcc_lo, s22, v2
	v_add_co_ci_u32_e32 v3, vcc_lo, s23, v3, vcc_lo
	s_add_i32 s13, s12, 1
	s_sub_i32 s14, s3, s8
	s_cmp_ge_u32 s3, s8
	global_load_b32 v2, v[2:3], off
	s_cselect_b32 s12, s13, s12
	s_cselect_b32 s3, s14, s3
	s_add_i32 s13, s12, 1
	s_cmp_ge_u32 s3, s8
	s_cselect_b32 s3, s13, s12
	s_delay_alu instid0(SALU_CYCLE_1) | instskip(NEXT) | instid1(SALU_CYCLE_1)
	s_xor_b32 s3, s3, s2
	s_sub_i32 s2, s3, s2
	s_delay_alu instid0(SALU_CYCLE_1)
	s_mul_i32 s2, s2, s10
	s_waitcnt vmcnt(0)
	ds_store_b32 v0, v2 offset:1536
	v_mad_u64_u32 v[2:3], null, s2, s7, v[1:2]
	s_add_i32 s7, s7, 1
	s_waitcnt lgkmcnt(0)
	s_waitcnt_vscnt null, 0x0
	s_barrier
	buffer_gl0_inv
	v_mad_u64_u32 v[8:9], null, s2, s7, v[1:2]
	s_mov_b32 s7, exec_lo
	s_delay_alu instid0(VALU_DEP_1)
	v_cmpx_lt_i32_e64 v2, v8
	s_cbranch_execz .LBB1_4
; %bb.1:
	scratch_load_b32 v0, off, off offset:280 ; 4-byte Folded Reload
	v_ashrrev_i32_e32 v3, 31, v2
	s_ashr_i32 s11, s10, 31
	scratch_store_b64 off, v[8:9], off offset:284 ; 8-byte Folded Spill
	s_lshl_b64 s[2:3], s[10:11], 2
	s_waitcnt vmcnt(0)
	v_add_nc_u32_e32 v1, 0x200, v0
	v_add_nc_u32_e32 v0, 0x400, v0
	s_clause 0x1
	scratch_store_b32 off, v1, off offset:292
	scratch_store_b64 off, v[4:5], off offset:300
	v_lshlrev_b64 v[5:6], 2, v[2:3]
	v_mov_b32_e32 v3, 0
	scratch_store_b32 off, v0, off offset:296 ; 4-byte Folded Spill
.LBB1_2:                                ; =>This Inner Loop Header: Depth=1
	v_dual_mov_b32 v161, v52 :: v_dual_mov_b32 v160, v53
	v_add_co_u32 v52, vcc_lo, s16, v5
	v_add_co_ci_u32_e32 v53, vcc_lo, s17, v6, vcc_lo
	scratch_store_b64 off, v[2:3], off      ; 8-byte Folded Spill
	v_dual_mov_b32 v9, v7 :: v_dual_mov_b32 v8, v106
	s_clause 0x1f
	scratch_store_b32 off, v68, off offset:276
	scratch_store_b32 off, v69, off offset:272
	;; [unrolled: 1-line block ×32, first 2 shown]
	s_clause 0x1f
	scratch_store_b32 off, v100, off offset:148
	scratch_store_b32 off, v101, off offset:144
	;; [unrolled: 1-line block ×32, first 2 shown]
	s_clause 0x3
	scratch_store_b32 off, v133, off offset:20
	scratch_store_b32 off, v134, off offset:16
	;; [unrolled: 1-line block ×4, first 2 shown]
	s_waitcnt_vscnt null, 0x0
	s_barrier
	buffer_gl0_inv
	global_load_b32 v7, v[52:53], off
	scratch_load_b32 v52, off, off offset:280 ; 4-byte Folded Reload
	v_dual_mov_b32 v159, v54 :: v_dual_mov_b32 v158, v55
	v_dual_mov_b32 v157, v56 :: v_dual_mov_b32 v156, v57
	;; [unrolled: 1-line block ×28, first 2 shown]
	s_waitcnt vmcnt(0)
	ds_store_b32 v52, v7
	v_add_co_u32 v52, vcc_lo, s20, v5
	v_add_co_ci_u32_e32 v53, vcc_lo, s21, v6, vcc_lo
	global_load_b32 v7, v[52:53], off
	scratch_load_b32 v52, off, off offset:292 ; 4-byte Folded Reload
	s_waitcnt vmcnt(0)
	ds_store_b32 v52, v7
	v_add_co_u32 v52, vcc_lo, s0, v5
	v_add_co_ci_u32_e32 v53, vcc_lo, s1, v6, vcc_lo
	global_load_b32 v7, v[52:53], off
	scratch_load_b32 v52, off, off offset:296 ; 4-byte Folded Reload
	s_waitcnt vmcnt(0)
	ds_store_b32 v52, v7
	v_add_co_u32 v52, vcc_lo, s18, v5
	v_add_co_ci_u32_e32 v53, vcc_lo, s19, v6, vcc_lo
	s_waitcnt lgkmcnt(0)
	s_barrier
	buffer_gl0_inv
	global_load_b32 v136, v[52:53], off
	ds_load_b128 v[52:55], v3
	ds_load_b128 v[56:59], v3 offset:16
	ds_load_b128 v[60:63], v3 offset:32
	;; [unrolled: 1-line block ×3, first 2 shown]
	s_waitcnt vmcnt(0) lgkmcnt(3)
	v_mul_f32_e32 v162, v136, v53
	v_mul_f32_e32 v163, v136, v52
	;; [unrolled: 1-line block ×3, first 2 shown]
	s_waitcnt lgkmcnt(2)
	v_mul_f32_e32 v138, v136, v57
	v_mul_f32_e32 v7, v136, v54
	ds_load_b128 v[52:55], v3 offset:512
	ds_load_b128 v[68:71], v3 offset:1536
	s_waitcnt lgkmcnt(3)
	v_mul_f32_e32 v144, v136, v62
	v_mul_f32_e32 v137, v136, v56
	s_waitcnt lgkmcnt(2)
	v_mul_f32_e32 v190, v136, v67
	v_mul_f32_e32 v143, v136, v58
	;; [unrolled: 1-line block ×9, first 2 shown]
	s_waitcnt lgkmcnt(0)
	v_fma_f32 v68, v163, v68, v11
	s_delay_alu instid0(VALU_DEP_1) | instskip(SKIP_1) | instid1(VALU_DEP_1)
	v_fma_f32 v141, v52, v68, 0
	v_fma_f32 v52, v162, v69, v10
	v_fmac_f32_e32 v141, v53, v52
	v_fma_f32 v52, v7, v70, v9
	s_delay_alu instid0(VALU_DEP_1) | instskip(SKIP_1) | instid1(VALU_DEP_1)
	v_fmac_f32_e32 v141, v54, v52
	v_fma_f32 v52, v106, v71, v8
	v_fmac_f32_e32 v141, v55, v52
	ds_load_b128 v[52:55], v3 offset:1024
	s_waitcnt lgkmcnt(0)
	v_fmac_f32_e32 v106, v8, v55
	v_dual_fmac_f32 v162, v10, v53 :: v_dual_fmac_f32 v163, v11, v52
	v_fmac_f32_e32 v7, v9, v54
	ds_load_b128 v[8:11], v3 offset:528
	ds_load_b128 v[52:55], v3 offset:1552
	s_waitcnt lgkmcnt(0)
	v_fma_f32 v52, v137, v52, v15
	s_delay_alu instid0(VALU_DEP_1) | instskip(SKIP_1) | instid1(VALU_DEP_1)
	v_fmac_f32_e32 v141, v8, v52
	v_fma_f32 v8, v138, v53, v14
	v_fmac_f32_e32 v141, v9, v8
	v_fma_f32 v8, v143, v54, v13
	s_delay_alu instid0(VALU_DEP_1) | instskip(SKIP_1) | instid1(VALU_DEP_1)
	v_fmac_f32_e32 v141, v10, v8
	v_fma_f32 v8, v142, v55, v12
	v_fmac_f32_e32 v141, v11, v8
	ds_load_b128 v[8:11], v3 offset:1040
	s_waitcnt lgkmcnt(0)
	v_dual_fmac_f32 v137, v15, v8 :: v_dual_fmac_f32 v138, v14, v9
	v_dual_fmac_f32 v143, v13, v10 :: v_dual_fmac_f32 v142, v12, v11
	ds_load_b128 v[8:11], v3 offset:544
	ds_load_b128 v[12:15], v3 offset:1568
	s_waitcnt lgkmcnt(0)
	v_fma_f32 v12, v140, v12, v16
	s_delay_alu instid0(VALU_DEP_1) | instskip(SKIP_1) | instid1(VALU_DEP_1)
	v_fmac_f32_e32 v141, v8, v12
	v_fma_f32 v8, v139, v13, v17
	v_fmac_f32_e32 v141, v9, v8
	v_fma_f32 v8, v144, v14, v18
	s_delay_alu instid0(VALU_DEP_1) | instskip(SKIP_1) | instid1(VALU_DEP_1)
	v_fmac_f32_e32 v141, v10, v8
	v_fma_f32 v8, v145, v15, v19
	v_fmac_f32_e32 v141, v11, v8
	ds_load_b128 v[8:11], v3 offset:1056
	s_waitcnt lgkmcnt(0)
	v_dual_fmac_f32 v140, v16, v8 :: v_dual_fmac_f32 v139, v17, v9
	v_dual_fmac_f32 v144, v18, v10 :: v_dual_fmac_f32 v145, v19, v11
	;; [unrolled: 17-line block ×3, first 2 shown]
	ds_load_b128 v[8:11], v3 offset:64
	s_waitcnt lgkmcnt(0)
	v_mul_f32_e32 v150, v136, v8
	v_mul_f32_e32 v148, v136, v9
	;; [unrolled: 1-line block ×4, first 2 shown]
	ds_load_b128 v[8:11], v3 offset:576
	ds_load_b128 v[12:15], v3 offset:1600
	s_waitcnt lgkmcnt(0)
	v_fma_f32 v12, v150, v12, v24
	s_delay_alu instid0(VALU_DEP_1) | instskip(SKIP_1) | instid1(VALU_DEP_1)
	v_fmac_f32_e32 v141, v8, v12
	v_fma_f32 v8, v148, v13, v25
	v_fmac_f32_e32 v141, v9, v8
	v_fma_f32 v8, v189, v14, v26
	s_delay_alu instid0(VALU_DEP_1) | instskip(SKIP_1) | instid1(VALU_DEP_1)
	v_fmac_f32_e32 v141, v10, v8
	v_fma_f32 v8, v188, v15, v27
	v_fmac_f32_e32 v141, v11, v8
	ds_load_b128 v[8:11], v3 offset:1088
	s_waitcnt lgkmcnt(0)
	v_dual_fmac_f32 v150, v24, v8 :: v_dual_fmac_f32 v189, v26, v10
	v_fmac_f32_e32 v148, v25, v9
	v_fmac_f32_e32 v188, v27, v11
	ds_load_b128 v[8:11], v3 offset:80
	s_waitcnt lgkmcnt(0)
	v_mul_f32_e32 v187, v136, v8
	v_mul_f32_e32 v186, v136, v9
	v_mul_f32_e32 v185, v136, v10
	v_mul_f32_e32 v184, v136, v11
	ds_load_b128 v[8:11], v3 offset:592
	ds_load_b128 v[12:15], v3 offset:1616
	s_waitcnt lgkmcnt(0)
	v_fma_f32 v12, v187, v12, v28
	s_delay_alu instid0(VALU_DEP_1) | instskip(SKIP_1) | instid1(VALU_DEP_1)
	v_fmac_f32_e32 v141, v8, v12
	v_fma_f32 v8, v186, v13, v29
	v_fmac_f32_e32 v141, v9, v8
	v_fma_f32 v8, v185, v14, v30
	s_delay_alu instid0(VALU_DEP_1) | instskip(SKIP_1) | instid1(VALU_DEP_1)
	v_fmac_f32_e32 v141, v10, v8
	v_fma_f32 v8, v184, v15, v31
	v_fmac_f32_e32 v141, v11, v8
	ds_load_b128 v[8:11], v3 offset:1104
	s_waitcnt lgkmcnt(0)
	v_dual_fmac_f32 v187, v28, v8 :: v_dual_fmac_f32 v186, v29, v9
	v_dual_fmac_f32 v185, v30, v10 :: v_dual_fmac_f32 v184, v31, v11
	ds_load_b128 v[8:11], v3 offset:96
	s_waitcnt lgkmcnt(0)
	v_mul_f32_e32 v183, v136, v8
	v_mul_f32_e32 v182, v136, v9
	v_mul_f32_e32 v181, v136, v10
	v_mul_f32_e32 v180, v136, v11
	ds_load_b128 v[8:11], v3 offset:608
	ds_load_b128 v[12:15], v3 offset:1632
	s_waitcnt lgkmcnt(0)
	v_fma_f32 v12, v183, v12, v32
	s_delay_alu instid0(VALU_DEP_1) | instskip(SKIP_1) | instid1(VALU_DEP_1)
	v_fmac_f32_e32 v141, v8, v12
	v_fma_f32 v8, v182, v13, v33
	v_fmac_f32_e32 v141, v9, v8
	v_fma_f32 v8, v181, v14, v34
	s_delay_alu instid0(VALU_DEP_1) | instskip(SKIP_1) | instid1(VALU_DEP_1)
	v_fmac_f32_e32 v141, v10, v8
	v_fma_f32 v8, v180, v15, v35
	v_fmac_f32_e32 v141, v11, v8
	ds_load_b128 v[8:11], v3 offset:1120
	s_waitcnt lgkmcnt(0)
	v_dual_fmac_f32 v183, v32, v8 :: v_dual_fmac_f32 v182, v33, v9
	v_dual_fmac_f32 v181, v34, v10 :: v_dual_fmac_f32 v180, v35, v11
	;; [unrolled: 23-line block ×10, first 2 shown]
	ds_load_b128 v[8:11], v3 offset:240
	s_waitcnt lgkmcnt(0)
	v_mul_f32_e32 v68, v136, v8
	v_mul_f32_e32 v69, v136, v9
	v_mul_f32_e32 v70, v136, v10
	v_mul_f32_e32 v71, v136, v11
	ds_load_b128 v[8:11], v3 offset:752
	ds_load_b128 v[12:15], v3 offset:1776
	s_clause 0x3
	scratch_load_b32 v16, off, off offset:276
	scratch_load_b32 v4, off, off offset:272
	scratch_load_b32 v2, off, off offset:268
	scratch_load_b32 v1, off, off offset:264
	s_waitcnt vmcnt(3) lgkmcnt(0)
	v_fma_f32 v0, v68, v12, v16
	s_delay_alu instid0(VALU_DEP_1) | instskip(SKIP_2) | instid1(VALU_DEP_1)
	v_fmac_f32_e32 v141, v8, v0
	s_waitcnt vmcnt(2)
	v_fma_f32 v0, v69, v13, v4
	v_fmac_f32_e32 v141, v9, v0
	s_waitcnt vmcnt(1)
	v_fma_f32 v0, v70, v14, v2
	s_delay_alu instid0(VALU_DEP_1) | instskip(SKIP_2) | instid1(VALU_DEP_1)
	v_fmac_f32_e32 v141, v10, v0
	s_waitcnt vmcnt(0)
	v_fma_f32 v0, v71, v15, v1
	v_fmac_f32_e32 v141, v11, v0
	ds_load_b128 v[8:11], v3 offset:1264
	s_waitcnt lgkmcnt(0)
	v_fmac_f32_e32 v68, v16, v8
	v_dual_fmac_f32 v69, v4, v9 :: v_dual_fmac_f32 v70, v2, v10
	v_fmac_f32_e32 v71, v1, v11
	ds_load_b128 v[8:11], v3 offset:256
	s_waitcnt lgkmcnt(0)
	v_mul_f32_e32 v72, v136, v8
	v_mul_f32_e32 v73, v136, v9
	v_mul_f32_e32 v74, v136, v10
	v_mul_f32_e32 v75, v136, v11
	ds_load_b128 v[8:11], v3 offset:768
	ds_load_b128 v[12:15], v3 offset:1792
	s_clause 0x3
	scratch_load_b32 v16, off, off offset:260
	scratch_load_b32 v4, off, off offset:256
	scratch_load_b32 v2, off, off offset:252
	scratch_load_b32 v1, off, off offset:248
	s_waitcnt vmcnt(3) lgkmcnt(0)
	v_fma_f32 v0, v72, v12, v16
	s_delay_alu instid0(VALU_DEP_1) | instskip(SKIP_2) | instid1(VALU_DEP_1)
	v_fmac_f32_e32 v141, v8, v0
	s_waitcnt vmcnt(2)
	v_fma_f32 v0, v73, v13, v4
	v_fmac_f32_e32 v141, v9, v0
	s_waitcnt vmcnt(1)
	v_fma_f32 v0, v74, v14, v2
	s_delay_alu instid0(VALU_DEP_1) | instskip(SKIP_2) | instid1(VALU_DEP_1)
	v_fmac_f32_e32 v141, v10, v0
	s_waitcnt vmcnt(0)
	v_fma_f32 v0, v75, v15, v1
	v_fmac_f32_e32 v141, v11, v0
	ds_load_b128 v[8:11], v3 offset:1280
	s_waitcnt lgkmcnt(0)
	v_fmac_f32_e32 v72, v16, v8
	v_dual_fmac_f32 v73, v4, v9 :: v_dual_fmac_f32 v74, v2, v10
	v_fmac_f32_e32 v75, v1, v11
	;; [unrolled: 32-line block ×3, first 2 shown]
	ds_load_b128 v[8:11], v3 offset:288
	s_waitcnt lgkmcnt(0)
	v_mul_f32_e32 v80, v136, v8
	v_mul_f32_e32 v81, v136, v9
	;; [unrolled: 1-line block ×4, first 2 shown]
	ds_load_b128 v[8:11], v3 offset:800
	ds_load_b128 v[12:15], v3 offset:1824
	s_clause 0x3
	scratch_load_b32 v16, off, off offset:228
	scratch_load_b32 v4, off, off offset:224
	;; [unrolled: 1-line block ×4, first 2 shown]
	s_waitcnt vmcnt(3) lgkmcnt(0)
	v_fma_f32 v0, v80, v12, v16
	s_delay_alu instid0(VALU_DEP_1) | instskip(SKIP_2) | instid1(VALU_DEP_1)
	v_fmac_f32_e32 v141, v8, v0
	s_waitcnt vmcnt(2)
	v_fma_f32 v0, v81, v13, v4
	v_fmac_f32_e32 v141, v9, v0
	s_waitcnt vmcnt(1)
	v_fma_f32 v0, v82, v14, v2
	s_delay_alu instid0(VALU_DEP_1) | instskip(SKIP_2) | instid1(VALU_DEP_1)
	v_fmac_f32_e32 v141, v10, v0
	s_waitcnt vmcnt(0)
	v_fma_f32 v0, v83, v15, v1
	v_fmac_f32_e32 v141, v11, v0
	ds_load_b128 v[8:11], v3 offset:1312
	s_waitcnt lgkmcnt(0)
	v_dual_fmac_f32 v80, v16, v8 :: v_dual_fmac_f32 v83, v1, v11
	v_dual_fmac_f32 v81, v4, v9 :: v_dual_fmac_f32 v82, v2, v10
	ds_load_b128 v[8:11], v3 offset:304
	s_waitcnt lgkmcnt(0)
	v_mul_f32_e32 v85, v136, v9
	v_mul_f32_e32 v86, v136, v10
	v_mul_f32_e32 v87, v136, v11
	v_mul_f32_e32 v84, v136, v8
	ds_load_b128 v[8:11], v3 offset:816
	ds_load_b128 v[12:15], v3 offset:1840
	s_clause 0x3
	scratch_load_b32 v16, off, off offset:212
	scratch_load_b32 v4, off, off offset:208
	;; [unrolled: 1-line block ×4, first 2 shown]
	s_waitcnt vmcnt(3) lgkmcnt(0)
	v_fma_f32 v0, v84, v12, v16
	s_delay_alu instid0(VALU_DEP_1) | instskip(SKIP_2) | instid1(VALU_DEP_1)
	v_fmac_f32_e32 v141, v8, v0
	s_waitcnt vmcnt(2)
	v_fma_f32 v0, v85, v13, v4
	v_fmac_f32_e32 v141, v9, v0
	s_waitcnt vmcnt(1)
	v_fma_f32 v0, v86, v14, v2
	s_delay_alu instid0(VALU_DEP_1) | instskip(SKIP_2) | instid1(VALU_DEP_1)
	v_fmac_f32_e32 v141, v10, v0
	s_waitcnt vmcnt(0)
	v_fma_f32 v0, v87, v15, v1
	v_fmac_f32_e32 v141, v11, v0
	ds_load_b128 v[8:11], v3 offset:1328
	s_waitcnt lgkmcnt(0)
	v_dual_fmac_f32 v85, v4, v9 :: v_dual_fmac_f32 v86, v2, v10
	v_dual_fmac_f32 v87, v1, v11 :: v_dual_fmac_f32 v84, v16, v8
	ds_load_b128 v[8:11], v3 offset:320
	s_waitcnt lgkmcnt(0)
	v_mul_f32_e32 v88, v136, v8
	v_mul_f32_e32 v89, v136, v9
	v_mul_f32_e32 v90, v136, v10
	v_mul_f32_e32 v91, v136, v11
	ds_load_b128 v[8:11], v3 offset:832
	ds_load_b128 v[12:15], v3 offset:1856
	s_clause 0x3
	scratch_load_b32 v16, off, off offset:196
	scratch_load_b32 v4, off, off offset:192
	scratch_load_b32 v2, off, off offset:188
	scratch_load_b32 v1, off, off offset:184
	s_waitcnt vmcnt(3) lgkmcnt(0)
	v_fma_f32 v0, v88, v12, v16
	s_delay_alu instid0(VALU_DEP_1) | instskip(SKIP_2) | instid1(VALU_DEP_1)
	v_fmac_f32_e32 v141, v8, v0
	s_waitcnt vmcnt(2)
	v_fma_f32 v0, v89, v13, v4
	v_fmac_f32_e32 v141, v9, v0
	s_waitcnt vmcnt(1)
	v_fma_f32 v0, v90, v14, v2
	s_delay_alu instid0(VALU_DEP_1) | instskip(SKIP_2) | instid1(VALU_DEP_1)
	v_fmac_f32_e32 v141, v10, v0
	s_waitcnt vmcnt(0)
	v_fma_f32 v0, v91, v15, v1
	v_fmac_f32_e32 v141, v11, v0
	ds_load_b128 v[8:11], v3 offset:1344
	s_waitcnt lgkmcnt(0)
	v_fmac_f32_e32 v88, v16, v8
	v_dual_fmac_f32 v89, v4, v9 :: v_dual_fmac_f32 v90, v2, v10
	v_fmac_f32_e32 v91, v1, v11
	ds_load_b128 v[8:11], v3 offset:336
	s_waitcnt lgkmcnt(0)
	v_mul_f32_e32 v92, v136, v8
	v_mul_f32_e32 v93, v136, v9
	v_mul_f32_e32 v94, v136, v10
	v_mul_f32_e32 v95, v136, v11
	ds_load_b128 v[8:11], v3 offset:848
	ds_load_b128 v[12:15], v3 offset:1872
	s_clause 0x3
	scratch_load_b32 v16, off, off offset:180
	scratch_load_b32 v4, off, off offset:176
	scratch_load_b32 v2, off, off offset:172
	scratch_load_b32 v1, off, off offset:168
	s_waitcnt vmcnt(3) lgkmcnt(0)
	v_fma_f32 v0, v92, v12, v16
	s_delay_alu instid0(VALU_DEP_1) | instskip(SKIP_2) | instid1(VALU_DEP_1)
	v_fmac_f32_e32 v141, v8, v0
	s_waitcnt vmcnt(2)
	v_fma_f32 v0, v93, v13, v4
	v_fmac_f32_e32 v141, v9, v0
	s_waitcnt vmcnt(1)
	v_fma_f32 v0, v94, v14, v2
	s_delay_alu instid0(VALU_DEP_1) | instskip(SKIP_2) | instid1(VALU_DEP_1)
	v_fmac_f32_e32 v141, v10, v0
	s_waitcnt vmcnt(0)
	v_fma_f32 v0, v95, v15, v1
	v_fmac_f32_e32 v141, v11, v0
	ds_load_b128 v[8:11], v3 offset:1360
	s_waitcnt lgkmcnt(0)
	v_fmac_f32_e32 v92, v16, v8
	v_dual_fmac_f32 v93, v4, v9 :: v_dual_fmac_f32 v94, v2, v10
	v_fmac_f32_e32 v95, v1, v11
	;; [unrolled: 32-line block ×4, first 2 shown]
	ds_load_b128 v[8:11], v3 offset:384
	s_waitcnt lgkmcnt(0)
	v_mul_f32_e32 v104, v136, v8
	v_mul_f32_e32 v105, v136, v9
	;; [unrolled: 1-line block ×4, first 2 shown]
	ds_load_b128 v[8:11], v3 offset:896
	ds_load_b128 v[12:15], v3 offset:1920
	s_clause 0x3
	scratch_load_b32 v16, off, off offset:132
	scratch_load_b32 v4, off, off offset:128
	;; [unrolled: 1-line block ×4, first 2 shown]
	s_waitcnt vmcnt(3) lgkmcnt(0)
	v_fma_f32 v0, v104, v12, v16
	s_delay_alu instid0(VALU_DEP_1) | instskip(SKIP_2) | instid1(VALU_DEP_1)
	v_fmac_f32_e32 v141, v8, v0
	s_waitcnt vmcnt(2)
	v_fma_f32 v0, v105, v13, v4
	v_fmac_f32_e32 v141, v9, v0
	s_waitcnt vmcnt(1)
	v_fma_f32 v0, v107, v14, v2
	s_delay_alu instid0(VALU_DEP_1) | instskip(SKIP_2) | instid1(VALU_DEP_1)
	v_fmac_f32_e32 v141, v10, v0
	s_waitcnt vmcnt(0)
	v_fma_f32 v0, v108, v15, v1
	v_fmac_f32_e32 v141, v11, v0
	ds_load_b128 v[8:11], v3 offset:1408
	s_waitcnt lgkmcnt(0)
	v_fmac_f32_e32 v104, v16, v8
	v_fmac_f32_e32 v105, v4, v9
	v_dual_fmac_f32 v107, v2, v10 :: v_dual_fmac_f32 v108, v1, v11
	ds_load_b128 v[8:11], v3 offset:400
	s_waitcnt lgkmcnt(0)
	v_mul_f32_e32 v109, v136, v8
	v_mul_f32_e32 v110, v136, v9
	v_mul_f32_e32 v111, v136, v10
	v_mul_f32_e32 v112, v136, v11
	ds_load_b128 v[8:11], v3 offset:912
	ds_load_b128 v[12:15], v3 offset:1936
	s_clause 0x3
	scratch_load_b32 v16, off, off offset:116
	scratch_load_b32 v4, off, off offset:112
	scratch_load_b32 v2, off, off offset:108
	scratch_load_b32 v1, off, off offset:104
	s_waitcnt vmcnt(3) lgkmcnt(0)
	v_fma_f32 v0, v109, v12, v16
	s_delay_alu instid0(VALU_DEP_1) | instskip(SKIP_2) | instid1(VALU_DEP_1)
	v_fmac_f32_e32 v141, v8, v0
	s_waitcnt vmcnt(2)
	v_fma_f32 v0, v110, v13, v4
	v_fmac_f32_e32 v141, v9, v0
	s_waitcnt vmcnt(1)
	v_fma_f32 v0, v111, v14, v2
	s_delay_alu instid0(VALU_DEP_1) | instskip(SKIP_2) | instid1(VALU_DEP_1)
	v_fmac_f32_e32 v141, v10, v0
	s_waitcnt vmcnt(0)
	v_fma_f32 v0, v112, v15, v1
	v_fmac_f32_e32 v141, v11, v0
	ds_load_b128 v[8:11], v3 offset:1424
	s_waitcnt lgkmcnt(0)
	v_fmac_f32_e32 v109, v16, v8
	v_dual_fmac_f32 v110, v4, v9 :: v_dual_fmac_f32 v111, v2, v10
	v_fmac_f32_e32 v112, v1, v11
	ds_load_b128 v[8:11], v3 offset:416
	s_waitcnt lgkmcnt(0)
	v_mul_f32_e32 v113, v136, v8
	v_mul_f32_e32 v114, v136, v9
	v_mul_f32_e32 v115, v136, v10
	v_mul_f32_e32 v116, v136, v11
	ds_load_b128 v[8:11], v3 offset:928
	ds_load_b128 v[12:15], v3 offset:1952
	s_clause 0x3
	scratch_load_b32 v16, off, off offset:100
	scratch_load_b32 v4, off, off offset:96
	scratch_load_b32 v2, off, off offset:92
	scratch_load_b32 v1, off, off offset:88
	s_waitcnt vmcnt(3) lgkmcnt(0)
	v_fma_f32 v0, v113, v12, v16
	s_delay_alu instid0(VALU_DEP_1) | instskip(SKIP_2) | instid1(VALU_DEP_1)
	v_fmac_f32_e32 v141, v8, v0
	s_waitcnt vmcnt(2)
	v_fma_f32 v0, v114, v13, v4
	v_fmac_f32_e32 v141, v9, v0
	s_waitcnt vmcnt(1)
	v_fma_f32 v0, v115, v14, v2
	s_delay_alu instid0(VALU_DEP_1) | instskip(SKIP_2) | instid1(VALU_DEP_1)
	v_fmac_f32_e32 v141, v10, v0
	s_waitcnt vmcnt(0)
	v_fma_f32 v0, v116, v15, v1
	v_fmac_f32_e32 v141, v11, v0
	ds_load_b128 v[8:11], v3 offset:1440
	s_waitcnt lgkmcnt(0)
	v_fmac_f32_e32 v113, v16, v8
	v_dual_fmac_f32 v114, v4, v9 :: v_dual_fmac_f32 v115, v2, v10
	v_fmac_f32_e32 v116, v1, v11
	;; [unrolled: 32-line block ×6, first 2 shown]
	ds_load_b128 v[8:11], v3 offset:496
	s_waitcnt lgkmcnt(0)
	v_mul_f32_e32 v133, v136, v8
	v_mul_f32_e32 v134, v136, v9
	;; [unrolled: 1-line block ×4, first 2 shown]
	ds_load_b128 v[8:11], v3 offset:1008
	ds_load_b128 v[12:15], v3 offset:2032
	s_clause 0x2
	scratch_load_b32 v2, off, off offset:20
	scratch_load_b32 v1, off, off offset:16
	;; [unrolled: 1-line block ×3, first 2 shown]
	s_waitcnt vmcnt(2) lgkmcnt(0)
	v_fma_f32 v0, v133, v12, v2
	scratch_load_b32 v12, off, off offset:12 ; 4-byte Folded Reload
	v_fmac_f32_e32 v141, v8, v0
	s_waitcnt vmcnt(2)
	v_fma_f32 v0, v134, v13, v1
	s_delay_alu instid0(VALU_DEP_1) | instskip(SKIP_2) | instid1(VALU_DEP_1)
	v_fmac_f32_e32 v141, v9, v0
	s_waitcnt vmcnt(0)
	v_fma_f32 v0, v135, v14, v12
	v_fmac_f32_e32 v141, v10, v0
	v_fma_f32 v0, v136, v15, v4
	s_delay_alu instid0(VALU_DEP_1)
	v_fmac_f32_e32 v141, v11, v0
	ds_load_b128 v[8:11], v3 offset:1520
	s_waitcnt lgkmcnt(0)
	v_dual_fmac_f32 v133, v2, v8 :: v_dual_fmac_f32 v134, v1, v9
	s_clause 0x1
	scratch_load_b64 v[8:9], off, off offset:284
	scratch_load_b64 v[0:1], off, off
	v_fmac_f32_e32 v135, v12, v10
	v_fmac_f32_e32 v136, v4, v11
	s_waitcnt vmcnt(0)
	v_mov_b32_e32 v2, v0
	v_add_co_u32 v0, vcc_lo, s4, v5
	v_add_co_ci_u32_e32 v1, vcc_lo, s5, v6, vcc_lo
	s_delay_alu instid0(VALU_DEP_3) | instskip(SKIP_2) | instid1(VALU_DEP_3)
	v_add_nc_u32_e32 v2, s10, v2
	v_add_co_u32 v5, vcc_lo, v5, s2
	v_add_co_ci_u32_e32 v6, vcc_lo, s3, v6, vcc_lo
	v_cmp_ge_i32_e32 vcc_lo, v2, v8
	global_store_b32 v[0:1], v141, off
	s_or_b32 s6, vcc_lo, s6
	s_delay_alu instid0(SALU_CYCLE_1)
	s_and_not1_b32 exec_lo, exec_lo, s6
	s_cbranch_execnz .LBB1_2
; %bb.3:
	s_or_b32 exec_lo, exec_lo, s6
	scratch_load_b64 v[4:5], off, off offset:300 ; 8-byte Folded Reload
.LBB1_4:
	s_or_b32 exec_lo, exec_lo, s7
	s_waitcnt vmcnt(0)
	v_mad_u64_u32 v[2:3], null, s10, s9, v[4:5]
	s_delay_alu instid0(VALU_DEP_1)
	v_ashrrev_i32_e32 v3, 31, v2
	v_add_nc_u32_e32 v0, 0x400, v2
	v_add_nc_u32_e32 v4, 0x480, v2
	;; [unrolled: 1-line block ×4, first 2 shown]
	v_lshlrev_b64 v[8:9], 2, v[2:3]
	v_ashrrev_i32_e32 v1, 31, v0
	v_ashrrev_i32_e32 v5, 31, v4
	v_add_nc_u32_e32 v3, 0x580, v2
	v_ashrrev_i32_e32 v11, 31, v10
	v_add_nc_u32_e32 v15, 0x780, v2
	v_add_co_u32 v8, vcc_lo, s4, v8
	v_add_co_ci_u32_e32 v9, vcc_lo, s5, v9, vcc_lo
	v_lshlrev_b64 v[0:1], 2, v[0:1]
	v_lshlrev_b64 v[5:6], 2, v[4:5]
	v_ashrrev_i32_e32 v4, 31, v3
	s_clause 0x7
	global_store_b32 v[8:9], v163, off
	global_store_b32 v[8:9], v162, off offset:512
	global_store_b32 v[8:9], v7, off offset:1024
	;; [unrolled: 1-line block ×7, first 2 shown]
	v_add_nc_u32_e32 v9, 0x600, v2
	v_lshlrev_b64 v[7:8], 2, v[10:11]
	v_add_nc_u32_e32 v11, 0x680, v2
	v_add_co_u32 v0, vcc_lo, s4, v0
	s_delay_alu instid0(VALU_DEP_4)
	v_ashrrev_i32_e32 v10, 31, v9
	v_add_co_ci_u32_e32 v1, vcc_lo, s5, v1, vcc_lo
	v_add_co_u32 v5, vcc_lo, s4, v5
	v_lshlrev_b64 v[3:4], 2, v[3:4]
	v_ashrrev_i32_e32 v12, 31, v11
	v_add_co_ci_u32_e32 v6, vcc_lo, s5, v6, vcc_lo
	v_add_co_u32 v7, vcc_lo, s4, v7
	v_lshlrev_b64 v[9:10], 2, v[9:10]
	;; [unrolled: 4-line block ×4, first 2 shown]
	v_add_co_ci_u32_e32 v10, vcc_lo, s5, v10, vcc_lo
	v_add_nc_u32_e32 v17, 0x800, v2
	v_add_co_u32 v11, vcc_lo, s4, v11
	v_lshlrev_b64 v[15:16], 2, v[15:16]
	v_add_co_ci_u32_e32 v12, vcc_lo, s5, v12, vcc_lo
	v_add_nc_u32_e32 v19, 0x880, v2
	v_add_co_u32 v13, vcc_lo, s4, v13
	v_ashrrev_i32_e32 v18, 31, v17
	v_add_co_ci_u32_e32 v14, vcc_lo, s5, v14, vcc_lo
	v_add_nc_u32_e32 v21, 0x900, v2
	v_add_co_u32 v15, vcc_lo, s4, v15
	v_ashrrev_i32_e32 v20, 31, v19
	v_add_co_ci_u32_e32 v16, vcc_lo, s5, v16, vcc_lo
	s_clause 0x7
	global_store_b32 v[0:1], v140, off
	global_store_b32 v[5:6], v139, off
	global_store_b32 v[7:8], v144, off
	global_store_b32 v[3:4], v145, off
	global_store_b32 v[9:10], v146, off
	global_store_b32 v[11:12], v147, off
	global_store_b32 v[13:14], v191, off
	global_store_b32 v[15:16], v190, off
	v_add_nc_u32_e32 v3, 0x980, v2
	v_lshlrev_b64 v[17:18], 2, v[17:18]
	v_ashrrev_i32_e32 v22, 31, v21
	v_add_nc_u32_e32 v9, 0xa00, v2
	v_lshlrev_b64 v[0:1], 2, v[19:20]
	v_ashrrev_i32_e32 v4, 31, v3
	v_add_nc_u32_e32 v11, 0xa80, v2
	v_add_co_u32 v5, vcc_lo, s4, v17
	v_lshlrev_b64 v[7:8], 2, v[21:22]
	v_ashrrev_i32_e32 v10, 31, v9
	v_add_co_ci_u32_e32 v6, vcc_lo, s5, v18, vcc_lo
	v_add_nc_u32_e32 v13, 0xb00, v2
	v_add_co_u32 v0, vcc_lo, s4, v0
	v_lshlrev_b64 v[3:4], 2, v[3:4]
	v_ashrrev_i32_e32 v12, 31, v11
	v_add_co_ci_u32_e32 v1, vcc_lo, s5, v1, vcc_lo
	v_add_nc_u32_e32 v15, 0xb80, v2
	v_add_co_u32 v7, vcc_lo, s4, v7
	v_lshlrev_b64 v[9:10], 2, v[9:10]
	v_ashrrev_i32_e32 v14, 31, v13
	v_add_co_ci_u32_e32 v8, vcc_lo, s5, v8, vcc_lo
	v_add_co_u32 v3, vcc_lo, s4, v3
	v_lshlrev_b64 v[11:12], 2, v[11:12]
	v_ashrrev_i32_e32 v16, 31, v15
	v_add_co_ci_u32_e32 v4, vcc_lo, s5, v4, vcc_lo
	v_add_co_u32 v9, vcc_lo, s4, v9
	v_lshlrev_b64 v[13:14], 2, v[13:14]
	v_add_co_ci_u32_e32 v10, vcc_lo, s5, v10, vcc_lo
	v_add_nc_u32_e32 v17, 0xc00, v2
	v_add_co_u32 v11, vcc_lo, s4, v11
	v_lshlrev_b64 v[15:16], 2, v[15:16]
	v_add_co_ci_u32_e32 v12, vcc_lo, s5, v12, vcc_lo
	v_add_nc_u32_e32 v19, 0xc80, v2
	v_add_co_u32 v13, vcc_lo, s4, v13
	v_ashrrev_i32_e32 v18, 31, v17
	v_add_co_ci_u32_e32 v14, vcc_lo, s5, v14, vcc_lo
	v_add_nc_u32_e32 v21, 0xd00, v2
	v_add_co_u32 v15, vcc_lo, s4, v15
	v_ashrrev_i32_e32 v20, 31, v19
	v_add_co_ci_u32_e32 v16, vcc_lo, s5, v16, vcc_lo
	s_clause 0x7
	global_store_b32 v[5:6], v150, off
	global_store_b32 v[0:1], v148, off
	global_store_b32 v[7:8], v189, off
	global_store_b32 v[3:4], v188, off
	global_store_b32 v[9:10], v187, off
	global_store_b32 v[11:12], v186, off
	global_store_b32 v[13:14], v185, off
	global_store_b32 v[15:16], v184, off
	v_add_nc_u32_e32 v3, 0xd80, v2
	v_lshlrev_b64 v[17:18], 2, v[17:18]
	v_ashrrev_i32_e32 v22, 31, v21
	v_add_nc_u32_e32 v9, 0xe00, v2
	v_lshlrev_b64 v[0:1], 2, v[19:20]
	v_ashrrev_i32_e32 v4, 31, v3
	v_add_nc_u32_e32 v11, 0xe80, v2
	v_add_co_u32 v5, vcc_lo, s4, v17
	v_lshlrev_b64 v[7:8], 2, v[21:22]
	v_ashrrev_i32_e32 v10, 31, v9
	v_add_co_ci_u32_e32 v6, vcc_lo, s5, v18, vcc_lo
	v_add_nc_u32_e32 v13, 0xf00, v2
	v_add_co_u32 v0, vcc_lo, s4, v0
	v_lshlrev_b64 v[3:4], 2, v[3:4]
	v_ashrrev_i32_e32 v12, 31, v11
	v_add_co_ci_u32_e32 v1, vcc_lo, s5, v1, vcc_lo
	v_add_nc_u32_e32 v15, 0xf80, v2
	v_add_co_u32 v7, vcc_lo, s4, v7
	v_lshlrev_b64 v[9:10], 2, v[9:10]
	v_ashrrev_i32_e32 v14, 31, v13
	v_add_co_ci_u32_e32 v8, vcc_lo, s5, v8, vcc_lo
	v_add_co_u32 v3, vcc_lo, s4, v3
	v_lshlrev_b64 v[11:12], 2, v[11:12]
	v_ashrrev_i32_e32 v16, 31, v15
	v_add_co_ci_u32_e32 v4, vcc_lo, s5, v4, vcc_lo
	v_add_co_u32 v9, vcc_lo, s4, v9
	v_lshlrev_b64 v[13:14], 2, v[13:14]
	v_add_co_ci_u32_e32 v10, vcc_lo, s5, v10, vcc_lo
	v_add_nc_u32_e32 v17, 0x1000, v2
	v_add_co_u32 v11, vcc_lo, s4, v11
	v_lshlrev_b64 v[15:16], 2, v[15:16]
	v_add_co_ci_u32_e32 v12, vcc_lo, s5, v12, vcc_lo
	v_add_nc_u32_e32 v19, 0x1080, v2
	v_add_co_u32 v13, vcc_lo, s4, v13
	v_ashrrev_i32_e32 v18, 31, v17
	v_add_co_ci_u32_e32 v14, vcc_lo, s5, v14, vcc_lo
	v_add_nc_u32_e32 v21, 0x1100, v2
	v_add_co_u32 v15, vcc_lo, s4, v15
	v_ashrrev_i32_e32 v20, 31, v19
	v_add_co_ci_u32_e32 v16, vcc_lo, s5, v16, vcc_lo
	s_clause 0x7
	global_store_b32 v[5:6], v183, off
	global_store_b32 v[0:1], v182, off
	global_store_b32 v[7:8], v181, off
	global_store_b32 v[3:4], v180, off
	global_store_b32 v[9:10], v179, off
	global_store_b32 v[11:12], v178, off
	global_store_b32 v[13:14], v177, off
	global_store_b32 v[15:16], v176, off
	v_add_nc_u32_e32 v3, 0x1180, v2
	v_lshlrev_b64 v[17:18], 2, v[17:18]
	v_ashrrev_i32_e32 v22, 31, v21
	v_add_nc_u32_e32 v9, 0x1200, v2
	v_lshlrev_b64 v[0:1], 2, v[19:20]
	v_ashrrev_i32_e32 v4, 31, v3
	v_add_nc_u32_e32 v11, 0x1280, v2
	v_add_co_u32 v5, vcc_lo, s4, v17
	v_lshlrev_b64 v[7:8], 2, v[21:22]
	v_ashrrev_i32_e32 v10, 31, v9
	v_add_co_ci_u32_e32 v6, vcc_lo, s5, v18, vcc_lo
	v_add_nc_u32_e32 v13, 0x1300, v2
	v_add_co_u32 v0, vcc_lo, s4, v0
	v_lshlrev_b64 v[3:4], 2, v[3:4]
	v_ashrrev_i32_e32 v12, 31, v11
	v_add_co_ci_u32_e32 v1, vcc_lo, s5, v1, vcc_lo
	v_add_nc_u32_e32 v15, 0x1380, v2
	v_add_co_u32 v7, vcc_lo, s4, v7
	v_lshlrev_b64 v[9:10], 2, v[9:10]
	v_ashrrev_i32_e32 v14, 31, v13
	v_add_co_ci_u32_e32 v8, vcc_lo, s5, v8, vcc_lo
	v_add_co_u32 v3, vcc_lo, s4, v3
	v_lshlrev_b64 v[11:12], 2, v[11:12]
	v_ashrrev_i32_e32 v16, 31, v15
	v_add_co_ci_u32_e32 v4, vcc_lo, s5, v4, vcc_lo
	v_add_co_u32 v9, vcc_lo, s4, v9
	v_lshlrev_b64 v[13:14], 2, v[13:14]
	v_add_co_ci_u32_e32 v10, vcc_lo, s5, v10, vcc_lo
	v_add_nc_u32_e32 v17, 0x1400, v2
	v_add_co_u32 v11, vcc_lo, s4, v11
	v_lshlrev_b64 v[15:16], 2, v[15:16]
	v_add_co_ci_u32_e32 v12, vcc_lo, s5, v12, vcc_lo
	v_add_nc_u32_e32 v19, 0x1480, v2
	v_add_co_u32 v13, vcc_lo, s4, v13
	v_ashrrev_i32_e32 v18, 31, v17
	v_add_co_ci_u32_e32 v14, vcc_lo, s5, v14, vcc_lo
	v_add_nc_u32_e32 v21, 0x1500, v2
	v_add_co_u32 v15, vcc_lo, s4, v15
	v_ashrrev_i32_e32 v20, 31, v19
	v_add_co_ci_u32_e32 v16, vcc_lo, s5, v16, vcc_lo
	s_clause 0x7
	global_store_b32 v[5:6], v175, off
	global_store_b32 v[0:1], v174, off
	global_store_b32 v[7:8], v173, off
	global_store_b32 v[3:4], v172, off
	global_store_b32 v[9:10], v171, off
	global_store_b32 v[11:12], v170, off
	global_store_b32 v[13:14], v169, off
	global_store_b32 v[15:16], v168, off
	v_add_nc_u32_e32 v3, 0x1580, v2
	v_lshlrev_b64 v[17:18], 2, v[17:18]
	v_ashrrev_i32_e32 v22, 31, v21
	v_add_nc_u32_e32 v9, 0x1600, v2
	v_lshlrev_b64 v[0:1], 2, v[19:20]
	v_ashrrev_i32_e32 v4, 31, v3
	v_add_nc_u32_e32 v11, 0x1680, v2
	v_add_co_u32 v5, vcc_lo, s4, v17
	v_lshlrev_b64 v[7:8], 2, v[21:22]
	v_ashrrev_i32_e32 v10, 31, v9
	v_add_co_ci_u32_e32 v6, vcc_lo, s5, v18, vcc_lo
	v_add_nc_u32_e32 v13, 0x1700, v2
	v_add_co_u32 v0, vcc_lo, s4, v0
	v_lshlrev_b64 v[3:4], 2, v[3:4]
	v_ashrrev_i32_e32 v12, 31, v11
	v_add_co_ci_u32_e32 v1, vcc_lo, s5, v1, vcc_lo
	v_add_nc_u32_e32 v15, 0x1780, v2
	v_add_co_u32 v7, vcc_lo, s4, v7
	v_lshlrev_b64 v[9:10], 2, v[9:10]
	v_ashrrev_i32_e32 v14, 31, v13
	v_add_co_ci_u32_e32 v8, vcc_lo, s5, v8, vcc_lo
	v_add_co_u32 v3, vcc_lo, s4, v3
	v_lshlrev_b64 v[11:12], 2, v[11:12]
	v_ashrrev_i32_e32 v16, 31, v15
	v_add_co_ci_u32_e32 v4, vcc_lo, s5, v4, vcc_lo
	v_add_co_u32 v9, vcc_lo, s4, v9
	v_lshlrev_b64 v[13:14], 2, v[13:14]
	v_add_co_ci_u32_e32 v10, vcc_lo, s5, v10, vcc_lo
	v_add_nc_u32_e32 v17, 0x1800, v2
	v_add_co_u32 v11, vcc_lo, s4, v11
	v_lshlrev_b64 v[15:16], 2, v[15:16]
	v_add_co_ci_u32_e32 v12, vcc_lo, s5, v12, vcc_lo
	v_add_nc_u32_e32 v19, 0x1880, v2
	v_add_co_u32 v13, vcc_lo, s4, v13
	v_ashrrev_i32_e32 v18, 31, v17
	v_add_co_ci_u32_e32 v14, vcc_lo, s5, v14, vcc_lo
	v_add_nc_u32_e32 v21, 0x1900, v2
	v_add_co_u32 v15, vcc_lo, s4, v15
	v_ashrrev_i32_e32 v20, 31, v19
	v_add_co_ci_u32_e32 v16, vcc_lo, s5, v16, vcc_lo
	s_clause 0x7
	global_store_b32 v[5:6], v167, off
	global_store_b32 v[0:1], v166, off
	global_store_b32 v[7:8], v165, off
	global_store_b32 v[3:4], v164, off
	global_store_b32 v[9:10], v52, off
	global_store_b32 v[11:12], v53, off
	global_store_b32 v[13:14], v54, off
	global_store_b32 v[15:16], v55, off
	v_add_nc_u32_e32 v3, 0x1980, v2
	v_lshlrev_b64 v[17:18], 2, v[17:18]
	v_ashrrev_i32_e32 v22, 31, v21
	v_add_nc_u32_e32 v9, 0x1a00, v2
	v_lshlrev_b64 v[0:1], 2, v[19:20]
	v_ashrrev_i32_e32 v4, 31, v3
	v_add_nc_u32_e32 v11, 0x1a80, v2
	v_add_co_u32 v5, vcc_lo, s4, v17
	v_lshlrev_b64 v[7:8], 2, v[21:22]
	v_ashrrev_i32_e32 v10, 31, v9
	v_add_co_ci_u32_e32 v6, vcc_lo, s5, v18, vcc_lo
	v_add_nc_u32_e32 v13, 0x1b00, v2
	v_add_co_u32 v0, vcc_lo, s4, v0
	v_lshlrev_b64 v[3:4], 2, v[3:4]
	v_ashrrev_i32_e32 v12, 31, v11
	v_add_co_ci_u32_e32 v1, vcc_lo, s5, v1, vcc_lo
	v_add_nc_u32_e32 v15, 0x1b80, v2
	v_add_co_u32 v7, vcc_lo, s4, v7
	v_lshlrev_b64 v[9:10], 2, v[9:10]
	v_ashrrev_i32_e32 v14, 31, v13
	v_add_co_ci_u32_e32 v8, vcc_lo, s5, v8, vcc_lo
	v_add_co_u32 v3, vcc_lo, s4, v3
	v_lshlrev_b64 v[11:12], 2, v[11:12]
	v_ashrrev_i32_e32 v16, 31, v15
	v_add_co_ci_u32_e32 v4, vcc_lo, s5, v4, vcc_lo
	v_add_co_u32 v9, vcc_lo, s4, v9
	v_lshlrev_b64 v[13:14], 2, v[13:14]
	v_add_co_ci_u32_e32 v10, vcc_lo, s5, v10, vcc_lo
	v_add_nc_u32_e32 v17, 0x1c00, v2
	v_add_co_u32 v11, vcc_lo, s4, v11
	v_lshlrev_b64 v[15:16], 2, v[15:16]
	v_add_co_ci_u32_e32 v12, vcc_lo, s5, v12, vcc_lo
	v_add_nc_u32_e32 v19, 0x1c80, v2
	v_add_co_u32 v13, vcc_lo, s4, v13
	v_ashrrev_i32_e32 v18, 31, v17
	v_add_co_ci_u32_e32 v14, vcc_lo, s5, v14, vcc_lo
	v_add_nc_u32_e32 v21, 0x1d00, v2
	v_add_co_u32 v15, vcc_lo, s4, v15
	v_ashrrev_i32_e32 v20, 31, v19
	v_add_co_ci_u32_e32 v16, vcc_lo, s5, v16, vcc_lo
	s_clause 0x7
	global_store_b32 v[5:6], v56, off
	global_store_b32 v[0:1], v57, off
	global_store_b32 v[7:8], v58, off
	global_store_b32 v[3:4], v59, off
	global_store_b32 v[9:10], v60, off
	global_store_b32 v[11:12], v61, off
	global_store_b32 v[13:14], v62, off
	global_store_b32 v[15:16], v63, off
	v_add_nc_u32_e32 v3, 0x1d80, v2
	v_lshlrev_b64 v[17:18], 2, v[17:18]
	v_ashrrev_i32_e32 v22, 31, v21
	v_add_nc_u32_e32 v9, 0x1e00, v2
	v_lshlrev_b64 v[0:1], 2, v[19:20]
	v_ashrrev_i32_e32 v4, 31, v3
	v_add_nc_u32_e32 v11, 0x1e80, v2
	v_add_co_u32 v5, vcc_lo, s4, v17
	v_lshlrev_b64 v[7:8], 2, v[21:22]
	v_ashrrev_i32_e32 v10, 31, v9
	v_add_co_ci_u32_e32 v6, vcc_lo, s5, v18, vcc_lo
	v_add_nc_u32_e32 v13, 0x1f00, v2
	v_add_co_u32 v0, vcc_lo, s4, v0
	v_lshlrev_b64 v[3:4], 2, v[3:4]
	v_ashrrev_i32_e32 v12, 31, v11
	v_add_co_ci_u32_e32 v1, vcc_lo, s5, v1, vcc_lo
	v_add_nc_u32_e32 v15, 0x1f80, v2
	v_add_co_u32 v7, vcc_lo, s4, v7
	v_lshlrev_b64 v[9:10], 2, v[9:10]
	v_ashrrev_i32_e32 v14, 31, v13
	v_add_co_ci_u32_e32 v8, vcc_lo, s5, v8, vcc_lo
	v_add_co_u32 v3, vcc_lo, s4, v3
	v_lshlrev_b64 v[11:12], 2, v[11:12]
	v_ashrrev_i32_e32 v16, 31, v15
	v_add_co_ci_u32_e32 v4, vcc_lo, s5, v4, vcc_lo
	v_add_co_u32 v9, vcc_lo, s4, v9
	v_lshlrev_b64 v[13:14], 2, v[13:14]
	v_add_co_ci_u32_e32 v10, vcc_lo, s5, v10, vcc_lo
	v_add_nc_u32_e32 v17, 0x2000, v2
	v_add_co_u32 v11, vcc_lo, s4, v11
	v_lshlrev_b64 v[15:16], 2, v[15:16]
	v_add_co_ci_u32_e32 v12, vcc_lo, s5, v12, vcc_lo
	v_add_nc_u32_e32 v19, 0x2080, v2
	v_add_co_u32 v13, vcc_lo, s4, v13
	v_ashrrev_i32_e32 v18, 31, v17
	v_add_co_ci_u32_e32 v14, vcc_lo, s5, v14, vcc_lo
	v_add_nc_u32_e32 v21, 0x2100, v2
	v_add_co_u32 v15, vcc_lo, s4, v15
	v_ashrrev_i32_e32 v20, 31, v19
	v_add_co_ci_u32_e32 v16, vcc_lo, s5, v16, vcc_lo
	s_clause 0x7
	global_store_b32 v[5:6], v64, off
	global_store_b32 v[0:1], v65, off
	global_store_b32 v[7:8], v66, off
	global_store_b32 v[3:4], v67, off
	global_store_b32 v[9:10], v68, off
	global_store_b32 v[11:12], v69, off
	global_store_b32 v[13:14], v70, off
	global_store_b32 v[15:16], v71, off
	v_add_nc_u32_e32 v3, 0x2180, v2
	v_lshlrev_b64 v[17:18], 2, v[17:18]
	v_ashrrev_i32_e32 v22, 31, v21
	v_add_nc_u32_e32 v9, 0x2200, v2
	v_lshlrev_b64 v[0:1], 2, v[19:20]
	v_ashrrev_i32_e32 v4, 31, v3
	v_add_nc_u32_e32 v11, 0x2280, v2
	v_add_co_u32 v5, vcc_lo, s4, v17
	v_lshlrev_b64 v[7:8], 2, v[21:22]
	v_ashrrev_i32_e32 v10, 31, v9
	v_add_co_ci_u32_e32 v6, vcc_lo, s5, v18, vcc_lo
	v_add_nc_u32_e32 v13, 0x2300, v2
	v_add_co_u32 v0, vcc_lo, s4, v0
	v_lshlrev_b64 v[3:4], 2, v[3:4]
	v_ashrrev_i32_e32 v12, 31, v11
	v_add_co_ci_u32_e32 v1, vcc_lo, s5, v1, vcc_lo
	v_add_nc_u32_e32 v15, 0x2380, v2
	v_add_co_u32 v7, vcc_lo, s4, v7
	v_lshlrev_b64 v[9:10], 2, v[9:10]
	v_ashrrev_i32_e32 v14, 31, v13
	v_add_co_ci_u32_e32 v8, vcc_lo, s5, v8, vcc_lo
	v_add_co_u32 v3, vcc_lo, s4, v3
	v_lshlrev_b64 v[11:12], 2, v[11:12]
	v_ashrrev_i32_e32 v16, 31, v15
	v_add_co_ci_u32_e32 v4, vcc_lo, s5, v4, vcc_lo
	v_add_co_u32 v9, vcc_lo, s4, v9
	v_lshlrev_b64 v[13:14], 2, v[13:14]
	v_add_co_ci_u32_e32 v10, vcc_lo, s5, v10, vcc_lo
	v_add_nc_u32_e32 v17, 0x2400, v2
	v_add_co_u32 v11, vcc_lo, s4, v11
	v_lshlrev_b64 v[15:16], 2, v[15:16]
	v_add_co_ci_u32_e32 v12, vcc_lo, s5, v12, vcc_lo
	v_add_nc_u32_e32 v19, 0x2480, v2
	v_add_co_u32 v13, vcc_lo, s4, v13
	v_ashrrev_i32_e32 v18, 31, v17
	v_add_co_ci_u32_e32 v14, vcc_lo, s5, v14, vcc_lo
	v_add_nc_u32_e32 v21, 0x2500, v2
	v_add_co_u32 v15, vcc_lo, s4, v15
	v_ashrrev_i32_e32 v20, 31, v19
	v_add_co_ci_u32_e32 v16, vcc_lo, s5, v16, vcc_lo
	s_clause 0x7
	global_store_b32 v[5:6], v72, off
	global_store_b32 v[0:1], v73, off
	global_store_b32 v[7:8], v74, off
	global_store_b32 v[3:4], v75, off
	global_store_b32 v[9:10], v76, off
	global_store_b32 v[11:12], v77, off
	global_store_b32 v[13:14], v78, off
	global_store_b32 v[15:16], v79, off
	v_add_nc_u32_e32 v3, 0x2580, v2
	v_lshlrev_b64 v[17:18], 2, v[17:18]
	v_ashrrev_i32_e32 v22, 31, v21
	v_add_nc_u32_e32 v9, 0x2600, v2
	v_lshlrev_b64 v[0:1], 2, v[19:20]
	v_ashrrev_i32_e32 v4, 31, v3
	v_add_nc_u32_e32 v11, 0x2680, v2
	v_add_co_u32 v5, vcc_lo, s4, v17
	v_lshlrev_b64 v[7:8], 2, v[21:22]
	v_ashrrev_i32_e32 v10, 31, v9
	v_add_co_ci_u32_e32 v6, vcc_lo, s5, v18, vcc_lo
	v_add_nc_u32_e32 v13, 0x2700, v2
	v_add_co_u32 v0, vcc_lo, s4, v0
	v_lshlrev_b64 v[3:4], 2, v[3:4]
	v_ashrrev_i32_e32 v12, 31, v11
	v_add_co_ci_u32_e32 v1, vcc_lo, s5, v1, vcc_lo
	v_add_nc_u32_e32 v15, 0x2780, v2
	v_add_co_u32 v7, vcc_lo, s4, v7
	v_lshlrev_b64 v[9:10], 2, v[9:10]
	v_ashrrev_i32_e32 v14, 31, v13
	v_add_co_ci_u32_e32 v8, vcc_lo, s5, v8, vcc_lo
	v_add_co_u32 v3, vcc_lo, s4, v3
	v_lshlrev_b64 v[11:12], 2, v[11:12]
	v_ashrrev_i32_e32 v16, 31, v15
	v_add_co_ci_u32_e32 v4, vcc_lo, s5, v4, vcc_lo
	v_add_co_u32 v9, vcc_lo, s4, v9
	v_lshlrev_b64 v[13:14], 2, v[13:14]
	v_add_co_ci_u32_e32 v10, vcc_lo, s5, v10, vcc_lo
	v_add_nc_u32_e32 v17, 0x2800, v2
	v_add_co_u32 v11, vcc_lo, s4, v11
	v_lshlrev_b64 v[15:16], 2, v[15:16]
	v_add_co_ci_u32_e32 v12, vcc_lo, s5, v12, vcc_lo
	v_add_nc_u32_e32 v19, 0x2880, v2
	v_add_co_u32 v13, vcc_lo, s4, v13
	v_ashrrev_i32_e32 v18, 31, v17
	v_add_co_ci_u32_e32 v14, vcc_lo, s5, v14, vcc_lo
	v_add_nc_u32_e32 v21, 0x2900, v2
	v_add_co_u32 v15, vcc_lo, s4, v15
	v_ashrrev_i32_e32 v20, 31, v19
	v_add_co_ci_u32_e32 v16, vcc_lo, s5, v16, vcc_lo
	s_clause 0x7
	global_store_b32 v[5:6], v80, off
	global_store_b32 v[0:1], v81, off
	global_store_b32 v[7:8], v82, off
	global_store_b32 v[3:4], v83, off
	global_store_b32 v[9:10], v84, off
	global_store_b32 v[11:12], v85, off
	global_store_b32 v[13:14], v86, off
	global_store_b32 v[15:16], v87, off
	v_add_nc_u32_e32 v3, 0x2980, v2
	v_lshlrev_b64 v[17:18], 2, v[17:18]
	v_ashrrev_i32_e32 v22, 31, v21
	v_add_nc_u32_e32 v9, 0x2a00, v2
	v_lshlrev_b64 v[0:1], 2, v[19:20]
	v_ashrrev_i32_e32 v4, 31, v3
	v_add_nc_u32_e32 v11, 0x2a80, v2
	v_add_co_u32 v5, vcc_lo, s4, v17
	v_lshlrev_b64 v[7:8], 2, v[21:22]
	v_ashrrev_i32_e32 v10, 31, v9
	v_add_co_ci_u32_e32 v6, vcc_lo, s5, v18, vcc_lo
	v_add_nc_u32_e32 v13, 0x2b00, v2
	v_add_co_u32 v0, vcc_lo, s4, v0
	v_lshlrev_b64 v[3:4], 2, v[3:4]
	v_ashrrev_i32_e32 v12, 31, v11
	v_add_co_ci_u32_e32 v1, vcc_lo, s5, v1, vcc_lo
	v_add_nc_u32_e32 v15, 0x2b80, v2
	v_add_co_u32 v7, vcc_lo, s4, v7
	v_lshlrev_b64 v[9:10], 2, v[9:10]
	v_ashrrev_i32_e32 v14, 31, v13
	v_add_co_ci_u32_e32 v8, vcc_lo, s5, v8, vcc_lo
	v_add_co_u32 v3, vcc_lo, s4, v3
	v_lshlrev_b64 v[11:12], 2, v[11:12]
	v_ashrrev_i32_e32 v16, 31, v15
	v_add_co_ci_u32_e32 v4, vcc_lo, s5, v4, vcc_lo
	v_add_co_u32 v9, vcc_lo, s4, v9
	v_lshlrev_b64 v[13:14], 2, v[13:14]
	v_add_co_ci_u32_e32 v10, vcc_lo, s5, v10, vcc_lo
	v_add_nc_u32_e32 v17, 0x2c00, v2
	v_add_co_u32 v11, vcc_lo, s4, v11
	v_lshlrev_b64 v[15:16], 2, v[15:16]
	v_add_co_ci_u32_e32 v12, vcc_lo, s5, v12, vcc_lo
	v_add_nc_u32_e32 v19, 0x2c80, v2
	v_add_co_u32 v13, vcc_lo, s4, v13
	v_ashrrev_i32_e32 v18, 31, v17
	v_add_co_ci_u32_e32 v14, vcc_lo, s5, v14, vcc_lo
	v_add_nc_u32_e32 v21, 0x2d00, v2
	v_add_co_u32 v15, vcc_lo, s4, v15
	v_ashrrev_i32_e32 v20, 31, v19
	v_add_co_ci_u32_e32 v16, vcc_lo, s5, v16, vcc_lo
	s_clause 0x7
	global_store_b32 v[5:6], v88, off
	global_store_b32 v[0:1], v89, off
	global_store_b32 v[7:8], v90, off
	global_store_b32 v[3:4], v91, off
	global_store_b32 v[9:10], v92, off
	global_store_b32 v[11:12], v93, off
	global_store_b32 v[13:14], v94, off
	global_store_b32 v[15:16], v95, off
	v_add_nc_u32_e32 v3, 0x2d80, v2
	v_lshlrev_b64 v[17:18], 2, v[17:18]
	v_ashrrev_i32_e32 v22, 31, v21
	v_add_nc_u32_e32 v9, 0x2e00, v2
	v_lshlrev_b64 v[0:1], 2, v[19:20]
	v_ashrrev_i32_e32 v4, 31, v3
	v_add_nc_u32_e32 v11, 0x2e80, v2
	v_add_co_u32 v5, vcc_lo, s4, v17
	v_lshlrev_b64 v[7:8], 2, v[21:22]
	v_ashrrev_i32_e32 v10, 31, v9
	v_add_co_ci_u32_e32 v6, vcc_lo, s5, v18, vcc_lo
	v_add_nc_u32_e32 v13, 0x2f00, v2
	v_add_co_u32 v0, vcc_lo, s4, v0
	v_lshlrev_b64 v[3:4], 2, v[3:4]
	v_ashrrev_i32_e32 v12, 31, v11
	v_add_co_ci_u32_e32 v1, vcc_lo, s5, v1, vcc_lo
	v_add_nc_u32_e32 v15, 0x2f80, v2
	v_add_co_u32 v7, vcc_lo, s4, v7
	v_lshlrev_b64 v[9:10], 2, v[9:10]
	v_ashrrev_i32_e32 v14, 31, v13
	v_add_co_ci_u32_e32 v8, vcc_lo, s5, v8, vcc_lo
	v_add_co_u32 v3, vcc_lo, s4, v3
	v_lshlrev_b64 v[11:12], 2, v[11:12]
	v_ashrrev_i32_e32 v16, 31, v15
	v_add_co_ci_u32_e32 v4, vcc_lo, s5, v4, vcc_lo
	v_add_co_u32 v9, vcc_lo, s4, v9
	v_lshlrev_b64 v[13:14], 2, v[13:14]
	v_add_co_ci_u32_e32 v10, vcc_lo, s5, v10, vcc_lo
	v_add_nc_u32_e32 v17, 0x3000, v2
	v_add_co_u32 v11, vcc_lo, s4, v11
	v_lshlrev_b64 v[15:16], 2, v[15:16]
	v_add_co_ci_u32_e32 v12, vcc_lo, s5, v12, vcc_lo
	v_add_nc_u32_e32 v19, 0x3080, v2
	v_add_co_u32 v13, vcc_lo, s4, v13
	v_ashrrev_i32_e32 v18, 31, v17
	v_add_co_ci_u32_e32 v14, vcc_lo, s5, v14, vcc_lo
	v_add_nc_u32_e32 v21, 0x3100, v2
	v_add_co_u32 v15, vcc_lo, s4, v15
	v_ashrrev_i32_e32 v20, 31, v19
	v_add_co_ci_u32_e32 v16, vcc_lo, s5, v16, vcc_lo
	s_clause 0x7
	global_store_b32 v[5:6], v96, off
	global_store_b32 v[0:1], v97, off
	global_store_b32 v[7:8], v98, off
	global_store_b32 v[3:4], v99, off
	global_store_b32 v[9:10], v100, off
	global_store_b32 v[11:12], v101, off
	global_store_b32 v[13:14], v102, off
	global_store_b32 v[15:16], v103, off
	v_add_nc_u32_e32 v3, 0x3180, v2
	v_lshlrev_b64 v[17:18], 2, v[17:18]
	v_ashrrev_i32_e32 v22, 31, v21
	v_add_nc_u32_e32 v9, 0x3200, v2
	v_lshlrev_b64 v[0:1], 2, v[19:20]
	v_ashrrev_i32_e32 v4, 31, v3
	v_add_nc_u32_e32 v11, 0x3280, v2
	v_add_co_u32 v5, vcc_lo, s4, v17
	v_lshlrev_b64 v[7:8], 2, v[21:22]
	v_ashrrev_i32_e32 v10, 31, v9
	v_add_co_ci_u32_e32 v6, vcc_lo, s5, v18, vcc_lo
	v_add_nc_u32_e32 v13, 0x3300, v2
	v_add_co_u32 v0, vcc_lo, s4, v0
	v_lshlrev_b64 v[3:4], 2, v[3:4]
	v_ashrrev_i32_e32 v12, 31, v11
	v_add_co_ci_u32_e32 v1, vcc_lo, s5, v1, vcc_lo
	v_add_nc_u32_e32 v15, 0x3380, v2
	v_add_co_u32 v7, vcc_lo, s4, v7
	v_lshlrev_b64 v[9:10], 2, v[9:10]
	v_ashrrev_i32_e32 v14, 31, v13
	v_add_co_ci_u32_e32 v8, vcc_lo, s5, v8, vcc_lo
	v_add_co_u32 v3, vcc_lo, s4, v3
	v_lshlrev_b64 v[11:12], 2, v[11:12]
	v_ashrrev_i32_e32 v16, 31, v15
	v_add_co_ci_u32_e32 v4, vcc_lo, s5, v4, vcc_lo
	v_add_co_u32 v9, vcc_lo, s4, v9
	v_lshlrev_b64 v[13:14], 2, v[13:14]
	v_add_co_ci_u32_e32 v10, vcc_lo, s5, v10, vcc_lo
	v_add_nc_u32_e32 v17, 0x3400, v2
	v_add_co_u32 v11, vcc_lo, s4, v11
	v_lshlrev_b64 v[15:16], 2, v[15:16]
	v_add_co_ci_u32_e32 v12, vcc_lo, s5, v12, vcc_lo
	v_add_nc_u32_e32 v19, 0x3480, v2
	v_add_co_u32 v13, vcc_lo, s4, v13
	v_ashrrev_i32_e32 v18, 31, v17
	v_add_co_ci_u32_e32 v14, vcc_lo, s5, v14, vcc_lo
	v_add_nc_u32_e32 v21, 0x3500, v2
	v_add_co_u32 v15, vcc_lo, s4, v15
	v_ashrrev_i32_e32 v20, 31, v19
	v_add_co_ci_u32_e32 v16, vcc_lo, s5, v16, vcc_lo
	s_clause 0x7
	global_store_b32 v[5:6], v104, off
	global_store_b32 v[0:1], v105, off
	global_store_b32 v[7:8], v107, off
	global_store_b32 v[3:4], v108, off
	global_store_b32 v[9:10], v109, off
	global_store_b32 v[11:12], v110, off
	global_store_b32 v[13:14], v111, off
	global_store_b32 v[15:16], v112, off
	v_add_nc_u32_e32 v3, 0x3580, v2
	v_lshlrev_b64 v[17:18], 2, v[17:18]
	v_ashrrev_i32_e32 v22, 31, v21
	v_add_nc_u32_e32 v9, 0x3600, v2
	v_lshlrev_b64 v[0:1], 2, v[19:20]
	v_ashrrev_i32_e32 v4, 31, v3
	v_add_nc_u32_e32 v11, 0x3680, v2
	v_add_co_u32 v5, vcc_lo, s4, v17
	v_lshlrev_b64 v[7:8], 2, v[21:22]
	v_ashrrev_i32_e32 v10, 31, v9
	v_add_co_ci_u32_e32 v6, vcc_lo, s5, v18, vcc_lo
	v_add_nc_u32_e32 v13, 0x3700, v2
	v_add_co_u32 v0, vcc_lo, s4, v0
	v_lshlrev_b64 v[3:4], 2, v[3:4]
	v_ashrrev_i32_e32 v12, 31, v11
	v_add_co_ci_u32_e32 v1, vcc_lo, s5, v1, vcc_lo
	v_add_nc_u32_e32 v15, 0x3780, v2
	v_add_co_u32 v7, vcc_lo, s4, v7
	v_lshlrev_b64 v[9:10], 2, v[9:10]
	v_ashrrev_i32_e32 v14, 31, v13
	v_add_co_ci_u32_e32 v8, vcc_lo, s5, v8, vcc_lo
	v_add_co_u32 v3, vcc_lo, s4, v3
	v_lshlrev_b64 v[11:12], 2, v[11:12]
	v_ashrrev_i32_e32 v16, 31, v15
	v_add_co_ci_u32_e32 v4, vcc_lo, s5, v4, vcc_lo
	v_add_co_u32 v9, vcc_lo, s4, v9
	v_lshlrev_b64 v[13:14], 2, v[13:14]
	v_add_co_ci_u32_e32 v10, vcc_lo, s5, v10, vcc_lo
	v_add_nc_u32_e32 v17, 0x3800, v2
	v_add_co_u32 v11, vcc_lo, s4, v11
	v_lshlrev_b64 v[15:16], 2, v[15:16]
	v_add_co_ci_u32_e32 v12, vcc_lo, s5, v12, vcc_lo
	v_add_nc_u32_e32 v19, 0x3880, v2
	v_add_co_u32 v13, vcc_lo, s4, v13
	v_ashrrev_i32_e32 v18, 31, v17
	v_add_co_ci_u32_e32 v14, vcc_lo, s5, v14, vcc_lo
	v_add_nc_u32_e32 v21, 0x3900, v2
	v_add_co_u32 v15, vcc_lo, s4, v15
	v_ashrrev_i32_e32 v20, 31, v19
	v_add_co_ci_u32_e32 v16, vcc_lo, s5, v16, vcc_lo
	s_clause 0x7
	global_store_b32 v[5:6], v113, off
	global_store_b32 v[0:1], v114, off
	global_store_b32 v[7:8], v115, off
	global_store_b32 v[3:4], v116, off
	global_store_b32 v[9:10], v117, off
	global_store_b32 v[11:12], v118, off
	global_store_b32 v[13:14], v119, off
	global_store_b32 v[15:16], v120, off
	v_add_nc_u32_e32 v3, 0x3980, v2
	v_lshlrev_b64 v[17:18], 2, v[17:18]
	v_ashrrev_i32_e32 v22, 31, v21
	v_add_nc_u32_e32 v9, 0x3a00, v2
	v_lshlrev_b64 v[0:1], 2, v[19:20]
	v_ashrrev_i32_e32 v4, 31, v3
	v_add_nc_u32_e32 v11, 0x3a80, v2
	v_add_co_u32 v5, vcc_lo, s4, v17
	v_lshlrev_b64 v[7:8], 2, v[21:22]
	v_ashrrev_i32_e32 v10, 31, v9
	v_add_co_ci_u32_e32 v6, vcc_lo, s5, v18, vcc_lo
	v_add_nc_u32_e32 v13, 0x3b00, v2
	v_add_co_u32 v0, vcc_lo, s4, v0
	v_lshlrev_b64 v[3:4], 2, v[3:4]
	v_ashrrev_i32_e32 v12, 31, v11
	v_add_co_ci_u32_e32 v1, vcc_lo, s5, v1, vcc_lo
	v_add_nc_u32_e32 v15, 0x3b80, v2
	v_add_co_u32 v7, vcc_lo, s4, v7
	v_lshlrev_b64 v[9:10], 2, v[9:10]
	v_ashrrev_i32_e32 v14, 31, v13
	v_add_co_ci_u32_e32 v8, vcc_lo, s5, v8, vcc_lo
	v_add_co_u32 v3, vcc_lo, s4, v3
	v_lshlrev_b64 v[11:12], 2, v[11:12]
	v_ashrrev_i32_e32 v16, 31, v15
	v_add_co_ci_u32_e32 v4, vcc_lo, s5, v4, vcc_lo
	v_add_co_u32 v9, vcc_lo, s4, v9
	v_lshlrev_b64 v[13:14], 2, v[13:14]
	v_add_co_ci_u32_e32 v10, vcc_lo, s5, v10, vcc_lo
	v_add_nc_u32_e32 v17, 0x3c00, v2
	v_add_co_u32 v11, vcc_lo, s4, v11
	v_lshlrev_b64 v[15:16], 2, v[15:16]
	v_add_co_ci_u32_e32 v12, vcc_lo, s5, v12, vcc_lo
	v_add_nc_u32_e32 v19, 0x3c80, v2
	v_add_co_u32 v13, vcc_lo, s4, v13
	v_ashrrev_i32_e32 v18, 31, v17
	v_add_co_ci_u32_e32 v14, vcc_lo, s5, v14, vcc_lo
	v_add_nc_u32_e32 v21, 0x3d00, v2
	v_add_co_u32 v15, vcc_lo, s4, v15
	v_ashrrev_i32_e32 v20, 31, v19
	v_add_co_ci_u32_e32 v16, vcc_lo, s5, v16, vcc_lo
	s_clause 0x7
	global_store_b32 v[5:6], v121, off
	global_store_b32 v[0:1], v122, off
	global_store_b32 v[7:8], v123, off
	global_store_b32 v[3:4], v124, off
	global_store_b32 v[9:10], v125, off
	global_store_b32 v[11:12], v126, off
	global_store_b32 v[13:14], v127, off
	global_store_b32 v[15:16], v128, off
	v_add_nc_u32_e32 v3, 0x3d80, v2
	v_lshlrev_b64 v[17:18], 2, v[17:18]
	v_ashrrev_i32_e32 v22, 31, v21
	v_add_nc_u32_e32 v9, 0x3e00, v2
	v_lshlrev_b64 v[0:1], 2, v[19:20]
	v_ashrrev_i32_e32 v4, 31, v3
	v_add_nc_u32_e32 v11, 0x3e80, v2
	v_add_co_u32 v5, vcc_lo, s4, v17
	v_lshlrev_b64 v[7:8], 2, v[21:22]
	v_ashrrev_i32_e32 v10, 31, v9
	v_add_co_ci_u32_e32 v6, vcc_lo, s5, v18, vcc_lo
	v_add_nc_u32_e32 v13, 0x3f00, v2
	v_add_co_u32 v0, vcc_lo, s4, v0
	v_lshlrev_b64 v[3:4], 2, v[3:4]
	v_ashrrev_i32_e32 v12, 31, v11
	v_add_co_ci_u32_e32 v1, vcc_lo, s5, v1, vcc_lo
	v_add_nc_u32_e32 v15, 0x3f80, v2
	v_add_co_u32 v7, vcc_lo, s4, v7
	v_lshlrev_b64 v[9:10], 2, v[9:10]
	v_ashrrev_i32_e32 v14, 31, v13
	v_add_co_ci_u32_e32 v8, vcc_lo, s5, v8, vcc_lo
	v_add_co_u32 v3, vcc_lo, s4, v3
	v_lshlrev_b64 v[11:12], 2, v[11:12]
	v_ashrrev_i32_e32 v16, 31, v15
	v_add_co_ci_u32_e32 v4, vcc_lo, s5, v4, vcc_lo
	v_add_co_u32 v9, vcc_lo, s4, v9
	v_lshlrev_b64 v[13:14], 2, v[13:14]
	v_add_co_ci_u32_e32 v10, vcc_lo, s5, v10, vcc_lo
	v_add_co_u32 v11, vcc_lo, s4, v11
	v_lshlrev_b64 v[15:16], 2, v[15:16]
	v_add_co_ci_u32_e32 v12, vcc_lo, s5, v12, vcc_lo
	v_add_co_u32 v13, vcc_lo, s4, v13
	v_add_co_ci_u32_e32 v14, vcc_lo, s5, v14, vcc_lo
	s_delay_alu instid0(VALU_DEP_4)
	v_add_co_u32 v15, vcc_lo, s4, v15
	v_add_co_ci_u32_e32 v16, vcc_lo, s5, v16, vcc_lo
	s_clause 0x7
	global_store_b32 v[5:6], v129, off
	global_store_b32 v[0:1], v130, off
	;; [unrolled: 1-line block ×8, first 2 shown]
	s_nop 0
	s_sendmsg sendmsg(MSG_DEALLOC_VGPRS)
	s_endpgm
	.section	.rodata,"a",@progbits
	.p2align	6, 0x0
	.amdhsa_kernel _ZL12rwkv_wkv_f32ILi128EEviiiiPKfS1_S1_S1_S1_S1_Pf
		.amdhsa_group_segment_fixed_size 2048
		.amdhsa_private_segment_fixed_size 312
		.amdhsa_kernarg_size 72
		.amdhsa_user_sgpr_count 15
		.amdhsa_user_sgpr_dispatch_ptr 0
		.amdhsa_user_sgpr_queue_ptr 0
		.amdhsa_user_sgpr_kernarg_segment_ptr 1
		.amdhsa_user_sgpr_dispatch_id 0
		.amdhsa_user_sgpr_private_segment_size 0
		.amdhsa_wavefront_size32 1
		.amdhsa_uses_dynamic_stack 0
		.amdhsa_enable_private_segment 1
		.amdhsa_system_sgpr_workgroup_id_x 1
		.amdhsa_system_sgpr_workgroup_id_y 0
		.amdhsa_system_sgpr_workgroup_id_z 0
		.amdhsa_system_sgpr_workgroup_info 0
		.amdhsa_system_vgpr_workitem_id 0
		.amdhsa_next_free_vgpr 192
		.amdhsa_next_free_sgpr 26
		.amdhsa_reserve_vcc 1
		.amdhsa_float_round_mode_32 0
		.amdhsa_float_round_mode_16_64 0
		.amdhsa_float_denorm_mode_32 3
		.amdhsa_float_denorm_mode_16_64 3
		.amdhsa_dx10_clamp 1
		.amdhsa_ieee_mode 1
		.amdhsa_fp16_overflow 0
		.amdhsa_workgroup_processor_mode 1
		.amdhsa_memory_ordered 1
		.amdhsa_forward_progress 0
		.amdhsa_shared_vgpr_count 0
		.amdhsa_exception_fp_ieee_invalid_op 0
		.amdhsa_exception_fp_denorm_src 0
		.amdhsa_exception_fp_ieee_div_zero 0
		.amdhsa_exception_fp_ieee_overflow 0
		.amdhsa_exception_fp_ieee_underflow 0
		.amdhsa_exception_fp_ieee_inexact 0
		.amdhsa_exception_int_div_zero 0
	.end_amdhsa_kernel
	.section	.text._ZL12rwkv_wkv_f32ILi128EEviiiiPKfS1_S1_S1_S1_S1_Pf,"axG",@progbits,_ZL12rwkv_wkv_f32ILi128EEviiiiPKfS1_S1_S1_S1_S1_Pf,comdat
.Lfunc_end1:
	.size	_ZL12rwkv_wkv_f32ILi128EEviiiiPKfS1_S1_S1_S1_S1_Pf, .Lfunc_end1-_ZL12rwkv_wkv_f32ILi128EEviiiiPKfS1_S1_S1_S1_S1_Pf
                                        ; -- End function
	.section	.AMDGPU.csdata,"",@progbits
; Kernel info:
; codeLenInByte = 17540
; NumSgprs: 28
; NumVgprs: 192
; ScratchSize: 312
; MemoryBound: 0
; FloatMode: 240
; IeeeMode: 1
; LDSByteSize: 2048 bytes/workgroup (compile time only)
; SGPRBlocks: 3
; VGPRBlocks: 23
; NumSGPRsForWavesPerEU: 28
; NumVGPRsForWavesPerEU: 192
; Occupancy: 8
; WaveLimiterHint : 1
; COMPUTE_PGM_RSRC2:SCRATCH_EN: 1
; COMPUTE_PGM_RSRC2:USER_SGPR: 15
; COMPUTE_PGM_RSRC2:TRAP_HANDLER: 0
; COMPUTE_PGM_RSRC2:TGID_X_EN: 1
; COMPUTE_PGM_RSRC2:TGID_Y_EN: 0
; COMPUTE_PGM_RSRC2:TGID_Z_EN: 0
; COMPUTE_PGM_RSRC2:TIDIG_COMP_CNT: 0
	.section	.text._ZL13rwkv_wkv7_f32ILi64EEviiiiPKfS1_S1_S1_S1_S1_S1_Pf,"axG",@progbits,_ZL13rwkv_wkv7_f32ILi64EEviiiiPKfS1_S1_S1_S1_S1_S1_Pf,comdat
	.globl	_ZL13rwkv_wkv7_f32ILi64EEviiiiPKfS1_S1_S1_S1_S1_S1_Pf ; -- Begin function _ZL13rwkv_wkv7_f32ILi64EEviiiiPKfS1_S1_S1_S1_S1_S1_Pf
	.p2align	8
	.type	_ZL13rwkv_wkv7_f32ILi64EEviiiiPKfS1_S1_S1_S1_S1_S1_Pf,@function
_ZL13rwkv_wkv7_f32ILi64EEviiiiPKfS1_S1_S1_S1_S1_S1_Pf: ; @_ZL13rwkv_wkv7_f32ILi64EEviiiiPKfS1_S1_S1_S1_S1_S1_Pf
; %bb.0:
	s_load_b128 s[4:7], s[0:1], 0x0
	s_abs_i32 s9, s15
	s_load_b512 s[16:31], s[0:1], 0x10
	s_waitcnt lgkmcnt(0)
	s_abs_i32 s2, s7
	s_delay_alu instid0(SALU_CYCLE_1) | instskip(SKIP_1) | instid1(VALU_DEP_1)
	v_cvt_f32_u32_e32 v1, s2
	s_sub_i32 s8, 0, s2
	v_rcp_iflag_f32_e32 v1, v1
	s_waitcnt_depctr 0xfff
	v_mul_f32_e32 v1, 0x4f7ffffe, v1
	s_delay_alu instid0(VALU_DEP_1) | instskip(NEXT) | instid1(VALU_DEP_1)
	v_cvt_u32_f32_e32 v1, v1
	v_readfirstlane_b32 s3, v1
	v_lshlrev_b32_e32 v1, 6, v0
	s_delay_alu instid0(VALU_DEP_2) | instskip(NEXT) | instid1(SALU_CYCLE_1)
	s_mul_i32 s8, s8, s3
	s_mul_hi_u32 s8, s3, s8
	s_delay_alu instid0(SALU_CYCLE_1) | instskip(SKIP_4) | instid1(SALU_CYCLE_1)
	s_add_i32 s3, s3, s8
	s_xor_b32 s8, s15, s7
	s_mul_hi_u32 s3, s9, s3
	s_ashr_i32 s8, s8, 31
	s_mul_i32 s10, s3, s2
	s_sub_i32 s9, s9, s10
	s_add_i32 s10, s3, 1
	s_sub_i32 s11, s9, s2
	s_cmp_ge_u32 s9, s2
	s_cselect_b32 s3, s10, s3
	s_cselect_b32 s9, s11, s9
	s_add_i32 s10, s3, 1
	s_cmp_ge_u32 s9, s2
	s_cselect_b32 s2, s10, s3
	s_delay_alu instid0(SALU_CYCLE_1) | instskip(NEXT) | instid1(SALU_CYCLE_1)
	s_xor_b32 s2, s2, s8
	s_sub_i32 s0, s2, s8
	s_abs_i32 s8, s5
	s_mul_i32 s1, s0, s7
	s_mul_i32 s2, s6, s0
	s_sub_i32 s1, s15, s1
	s_lshl_b32 s2, s2, 6
	s_lshl_b32 s3, s1, 12
	v_lshl_add_u32 v70, s1, 6, v0
	v_add3_u32 v65, s3, s2, v1
	s_abs_i32 s2, s4
	s_xor_b32 s4, s5, s4
	s_sub_i32 s7, 0, s2
	s_ashr_i32 s4, s4, 31
	v_ashrrev_i32_e32 v66, 31, v65
	s_delay_alu instid0(VALU_DEP_1) | instskip(SKIP_1) | instid1(VALU_DEP_1)
	v_lshlrev_b64 v[1:2], 2, v[65:66]
	v_cvt_f32_u32_e32 v66, s2
	v_rcp_iflag_f32_e32 v66, v66
	s_delay_alu instid0(VALU_DEP_2) | instskip(NEXT) | instid1(VALU_DEP_3)
	v_add_co_u32 v1, vcc_lo, s28, v1
	v_add_co_ci_u32_e32 v2, vcc_lo, s29, v2, vcc_lo
	s_clause 0xf
	global_load_b128 v[61:64], v[1:2], off
	global_load_b128 v[57:60], v[1:2], off offset:16
	global_load_b128 v[53:56], v[1:2], off offset:32
	;; [unrolled: 1-line block ×15, first 2 shown]
	v_mul_f32_e32 v66, 0x4f7ffffe, v66
	s_delay_alu instid0(VALU_DEP_1) | instskip(NEXT) | instid1(VALU_DEP_1)
	v_cvt_u32_f32_e32 v66, v66
	v_readfirstlane_b32 s3, v66
	s_delay_alu instid0(VALU_DEP_1) | instskip(NEXT) | instid1(SALU_CYCLE_1)
	s_mul_i32 s7, s7, s3
	s_mul_hi_u32 s7, s3, s7
	s_delay_alu instid0(SALU_CYCLE_1) | instskip(NEXT) | instid1(SALU_CYCLE_1)
	s_add_i32 s3, s3, s7
	s_mul_hi_u32 s3, s8, s3
	s_delay_alu instid0(SALU_CYCLE_1) | instskip(NEXT) | instid1(SALU_CYCLE_1)
	s_mul_i32 s7, s3, s2
	s_sub_i32 s7, s8, s7
	s_add_i32 s8, s3, 1
	s_sub_i32 s9, s7, s2
	s_cmp_ge_u32 s7, s2
	s_cselect_b32 s3, s8, s3
	s_cselect_b32 s7, s9, s7
	s_add_i32 s8, s3, 1
	s_cmp_ge_u32 s7, s2
	s_cselect_b32 s2, s8, s3
	s_delay_alu instid0(SALU_CYCLE_1) | instskip(NEXT) | instid1(SALU_CYCLE_1)
	s_xor_b32 s2, s2, s4
	s_sub_i32 s1, s2, s4
	s_mov_b32 s4, 0
	s_mul_i32 s1, s1, s6
	s_delay_alu instid0(SALU_CYCLE_1) | instskip(SKIP_1) | instid1(SALU_CYCLE_1)
	v_mad_u64_u32 v[66:67], null, s1, s0, v[70:71]
	s_add_i32 s0, s0, 1
	v_mad_u64_u32 v[68:69], null, s1, s0, v[70:71]
	s_mov_b32 s1, exec_lo
	s_delay_alu instid0(VALU_DEP_1)
	v_cmpx_lt_i32_e64 v66, v68
	s_cbranch_execz .LBB2_4
; %bb.1:
	v_ashrrev_i32_e32 v67, 31, v66
	v_lshlrev_b32_e32 v0, 2, v0
	s_ashr_i32 s7, s6, 31
	s_delay_alu instid0(SALU_CYCLE_1) | instskip(NEXT) | instid1(VALU_DEP_2)
	s_lshl_b64 s[2:3], s[6:7], 2
	v_lshlrev_b64 v[69:70], 2, v[66:67]
	v_mov_b32_e32 v67, 0
	v_add_nc_u32_e32 v71, 0x300, v0
	v_add_nc_u32_e32 v72, 0x400, v0
	;; [unrolled: 1-line block ×4, first 2 shown]
.LBB2_2:                                ; =>This Inner Loop Header: Depth=1
	v_add_co_u32 v75, vcc_lo, s16, v69
	v_add_co_ci_u32_e32 v76, vcc_lo, s17, v70, vcc_lo
	v_add_co_u32 v77, vcc_lo, s18, v69
	v_add_co_ci_u32_e32 v78, vcc_lo, s19, v70, vcc_lo
	;; [unrolled: 2-line block ×5, first 2 shown]
	s_waitcnt vmcnt(0)
	s_waitcnt_vscnt null, 0x0
	s_barrier
	buffer_gl0_inv
	global_load_b32 v75, v[75:76], off
	global_load_b32 v76, v[77:78], off
	;; [unrolled: 1-line block ×5, first 2 shown]
	v_add_co_u32 v89, vcc_lo, s22, v69
	v_add_co_ci_u32_e32 v90, vcc_lo, s23, v70, vcc_lo
	s_waitcnt vmcnt(4)
	ds_store_b32 v71, v75
	s_waitcnt vmcnt(3)
	ds_store_b32 v72, v76
	;; [unrolled: 2-line block ×5, first 2 shown]
	s_waitcnt lgkmcnt(0)
	s_barrier
	buffer_gl0_inv
	ds_load_b128 v[77:80], v67
	ds_load_b128 v[81:84], v67 offset:1024
	ds_load_b128 v[85:88], v67 offset:16
	global_load_b32 v76, v[89:90], off
	v_add_nc_u32_e32 v66, s6, v66
	s_delay_alu instid0(VALU_DEP_1) | instskip(NEXT) | instid1(VALU_DEP_1)
	v_cmp_ge_i32_e64 s0, v66, v68
	s_or_b32 s4, s0, s4
	s_waitcnt lgkmcnt(2)
	v_fma_f32 v75, v77, v61, 0
	s_delay_alu instid0(VALU_DEP_1) | instskip(SKIP_1) | instid1(VALU_DEP_1)
	v_fmac_f32_e32 v75, v78, v62
	s_waitcnt lgkmcnt(1)
	v_dual_mul_f32 v62, v62, v82 :: v_dual_fmac_f32 v75, v79, v63
	s_delay_alu instid0(VALU_DEP_1) | instskip(SKIP_3) | instid1(VALU_DEP_1)
	v_fmac_f32_e32 v75, v80, v64
	ds_load_b128 v[77:80], v67 offset:1040
	s_waitcnt lgkmcnt(1)
	v_dual_mul_f32 v64, v64, v84 :: v_dual_fmac_f32 v75, v85, v57
	v_fmac_f32_e32 v75, v86, v58
	s_delay_alu instid0(VALU_DEP_1) | instskip(NEXT) | instid1(VALU_DEP_1)
	v_fmac_f32_e32 v75, v87, v59
	v_fmac_f32_e32 v75, v88, v60
	ds_load_b128 v[85:88], v67 offset:1056
	s_waitcnt lgkmcnt(1)
	v_dual_mul_f32 v61, v61, v81 :: v_dual_mul_f32 v60, v60, v80
	v_mul_f32_e32 v63, v63, v83
	ds_load_b128 v[81:84], v67 offset:32
	v_dual_mul_f32 v57, v57, v77 :: v_dual_mul_f32 v58, v58, v78
	v_mul_f32_e32 v59, v59, v79
	ds_load_b128 v[77:80], v67 offset:48
	s_waitcnt lgkmcnt(1)
	v_fmac_f32_e32 v75, v81, v53
	v_mul_f32_e32 v53, v53, v85
	s_delay_alu instid0(VALU_DEP_2) | instskip(NEXT) | instid1(VALU_DEP_1)
	v_fmac_f32_e32 v75, v82, v54
	v_dual_mul_f32 v54, v54, v86 :: v_dual_fmac_f32 v75, v83, v55
	v_mul_f32_e32 v55, v55, v87
	s_delay_alu instid0(VALU_DEP_2)
	v_fmac_f32_e32 v75, v84, v56
	ds_load_b128 v[81:84], v67 offset:1072
	v_mul_f32_e32 v56, v56, v88
	ds_load_b128 v[85:88], v67 offset:64
	s_waitcnt lgkmcnt(2)
	v_fmac_f32_e32 v75, v77, v49
	s_delay_alu instid0(VALU_DEP_1) | instskip(NEXT) | instid1(VALU_DEP_1)
	v_fmac_f32_e32 v75, v78, v50
	v_fmac_f32_e32 v75, v79, v51
	s_delay_alu instid0(VALU_DEP_1)
	v_fmac_f32_e32 v75, v80, v52
	ds_load_b128 v[77:80], v67 offset:1088
	s_waitcnt lgkmcnt(2)
	v_dual_mul_f32 v49, v49, v81 :: v_dual_mul_f32 v50, v50, v82
	v_dual_mul_f32 v51, v51, v83 :: v_dual_mul_f32 v52, v52, v84
	ds_load_b128 v[81:84], v67 offset:80
	s_waitcnt lgkmcnt(2)
	v_fmac_f32_e32 v75, v85, v45
	s_delay_alu instid0(VALU_DEP_1) | instskip(NEXT) | instid1(VALU_DEP_1)
	v_fmac_f32_e32 v75, v86, v46
	v_fmac_f32_e32 v75, v87, v47
	s_waitcnt lgkmcnt(1)
	v_mul_f32_e32 v45, v45, v77
	s_delay_alu instid0(VALU_DEP_2)
	v_fmac_f32_e32 v75, v88, v48
	ds_load_b128 v[85:88], v67 offset:1104
	v_dual_mul_f32 v46, v46, v78 :: v_dual_mul_f32 v47, v47, v79
	v_mul_f32_e32 v48, v48, v80
	ds_load_b128 v[77:80], v67 offset:96
	s_waitcnt lgkmcnt(2)
	v_fmac_f32_e32 v75, v81, v41
	s_delay_alu instid0(VALU_DEP_1) | instskip(NEXT) | instid1(VALU_DEP_1)
	v_fmac_f32_e32 v75, v82, v42
	v_fmac_f32_e32 v75, v83, v43
	s_delay_alu instid0(VALU_DEP_1)
	v_fmac_f32_e32 v75, v84, v44
	ds_load_b128 v[81:84], v67 offset:1120
	s_waitcnt lgkmcnt(2)
	v_dual_mul_f32 v41, v41, v85 :: v_dual_mul_f32 v42, v42, v86
	v_dual_mul_f32 v43, v43, v87 :: v_dual_mul_f32 v44, v44, v88
	ds_load_b128 v[85:88], v67 offset:112
	s_waitcnt lgkmcnt(2)
	v_fmac_f32_e32 v75, v77, v37
	s_delay_alu instid0(VALU_DEP_1) | instskip(NEXT) | instid1(VALU_DEP_1)
	v_fmac_f32_e32 v75, v78, v38
	v_fmac_f32_e32 v75, v79, v39
	s_waitcnt lgkmcnt(1)
	v_mul_f32_e32 v37, v37, v81
	s_delay_alu instid0(VALU_DEP_2)
	v_fmac_f32_e32 v75, v80, v40
	ds_load_b128 v[77:80], v67 offset:1136
	v_dual_mul_f32 v38, v38, v82 :: v_dual_mul_f32 v39, v39, v83
	s_waitcnt lgkmcnt(1)
	v_dual_mul_f32 v40, v40, v84 :: v_dual_fmac_f32 v75, v85, v33
	ds_load_b128 v[81:84], v67 offset:128
	v_fmac_f32_e32 v75, v86, v34
	s_delay_alu instid0(VALU_DEP_1) | instskip(NEXT) | instid1(VALU_DEP_1)
	v_fmac_f32_e32 v75, v87, v35
	v_fmac_f32_e32 v75, v88, v36
	ds_load_b128 v[85:88], v67 offset:1152
	s_waitcnt lgkmcnt(2)
	v_dual_mul_f32 v33, v33, v77 :: v_dual_mul_f32 v34, v34, v78
	v_dual_mul_f32 v35, v35, v79 :: v_dual_mul_f32 v36, v36, v80
	ds_load_b128 v[77:80], v67 offset:144
	s_waitcnt lgkmcnt(2)
	v_fmac_f32_e32 v75, v81, v29
	s_delay_alu instid0(VALU_DEP_1) | instskip(SKIP_1) | instid1(VALU_DEP_1)
	v_fmac_f32_e32 v75, v82, v30
	s_waitcnt lgkmcnt(1)
	v_dual_mul_f32 v30, v30, v86 :: v_dual_fmac_f32 v75, v83, v31
	s_delay_alu instid0(VALU_DEP_1) | instskip(SKIP_4) | instid1(VALU_DEP_1)
	v_fmac_f32_e32 v75, v84, v32
	ds_load_b128 v[81:84], v67 offset:1168
	v_dual_mul_f32 v32, v32, v88 :: v_dual_mul_f32 v29, v29, v85
	s_waitcnt lgkmcnt(1)
	v_fmac_f32_e32 v75, v77, v25
	v_fmac_f32_e32 v75, v78, v26
	s_delay_alu instid0(VALU_DEP_1) | instskip(NEXT) | instid1(VALU_DEP_1)
	v_fmac_f32_e32 v75, v79, v27
	v_fmac_f32_e32 v75, v80, v28
	ds_load_b128 v[77:80], v67 offset:1184
	s_waitcnt lgkmcnt(1)
	v_dual_mul_f32 v26, v26, v82 :: v_dual_mul_f32 v31, v31, v87
	ds_load_b128 v[85:88], v67 offset:160
	v_mul_f32_e32 v25, v25, v81
	v_dual_mul_f32 v27, v27, v83 :: v_dual_mul_f32 v28, v28, v84
	ds_load_b128 v[81:84], v67 offset:176
	s_waitcnt lgkmcnt(1)
	v_fmac_f32_e32 v75, v85, v21
	v_mul_f32_e32 v21, v21, v77
	s_delay_alu instid0(VALU_DEP_2) | instskip(NEXT) | instid1(VALU_DEP_1)
	v_fmac_f32_e32 v75, v86, v22
	v_dual_mul_f32 v22, v22, v78 :: v_dual_fmac_f32 v75, v87, v23
	v_mul_f32_e32 v23, v23, v79
	s_delay_alu instid0(VALU_DEP_2)
	v_fmac_f32_e32 v75, v88, v24
	ds_load_b128 v[85:88], v67 offset:1200
	v_mul_f32_e32 v24, v24, v80
	ds_load_b128 v[77:80], v67 offset:192
	s_waitcnt lgkmcnt(2)
	v_fmac_f32_e32 v75, v81, v17
	s_delay_alu instid0(VALU_DEP_1) | instskip(NEXT) | instid1(VALU_DEP_1)
	v_fmac_f32_e32 v75, v82, v18
	v_fmac_f32_e32 v75, v83, v19
	s_delay_alu instid0(VALU_DEP_1)
	v_fmac_f32_e32 v75, v84, v20
	ds_load_b128 v[81:84], v67 offset:1216
	s_waitcnt lgkmcnt(2)
	v_dual_mul_f32 v17, v17, v85 :: v_dual_mul_f32 v18, v18, v86
	v_dual_mul_f32 v19, v19, v87 :: v_dual_mul_f32 v20, v20, v88
	ds_load_b128 v[85:88], v67 offset:208
	s_waitcnt lgkmcnt(2)
	v_fmac_f32_e32 v75, v77, v13
	s_delay_alu instid0(VALU_DEP_1) | instskip(NEXT) | instid1(VALU_DEP_1)
	v_fmac_f32_e32 v75, v78, v14
	v_fmac_f32_e32 v75, v79, v15
	s_waitcnt lgkmcnt(1)
	v_mul_f32_e32 v13, v13, v81
	s_delay_alu instid0(VALU_DEP_2)
	v_fmac_f32_e32 v75, v80, v16
	ds_load_b128 v[77:80], v67 offset:1232
	v_dual_mul_f32 v14, v14, v82 :: v_dual_mul_f32 v15, v15, v83
	v_mul_f32_e32 v16, v16, v84
	ds_load_b128 v[81:84], v67 offset:224
	s_waitcnt lgkmcnt(2)
	v_fmac_f32_e32 v75, v85, v9
	s_delay_alu instid0(VALU_DEP_1) | instskip(NEXT) | instid1(VALU_DEP_1)
	v_fmac_f32_e32 v75, v86, v10
	v_fmac_f32_e32 v75, v87, v11
	s_delay_alu instid0(VALU_DEP_1)
	v_fmac_f32_e32 v75, v88, v12
	ds_load_b128 v[85:88], v67 offset:1248
	s_waitcnt lgkmcnt(2)
	v_dual_mul_f32 v9, v9, v77 :: v_dual_mul_f32 v10, v10, v78
	v_dual_mul_f32 v11, v11, v79 :: v_dual_mul_f32 v12, v12, v80
	ds_load_b128 v[77:80], v67 offset:240
	s_waitcnt lgkmcnt(2)
	v_fmac_f32_e32 v75, v81, v5
	s_delay_alu instid0(VALU_DEP_1) | instskip(SKIP_1) | instid1(VALU_DEP_1)
	v_fmac_f32_e32 v75, v82, v6
	s_waitcnt lgkmcnt(1)
	v_dual_fmac_f32 v75, v83, v7 :: v_dual_mul_f32 v6, v6, v86
	s_delay_alu instid0(VALU_DEP_1) | instskip(SKIP_4) | instid1(VALU_DEP_1)
	v_fmac_f32_e32 v75, v84, v8
	ds_load_b128 v[81:84], v67 offset:1264
	v_dual_mul_f32 v7, v7, v87 :: v_dual_mul_f32 v8, v8, v88
	s_waitcnt lgkmcnt(1)
	v_fmac_f32_e32 v75, v77, v1
	v_fmac_f32_e32 v75, v78, v2
	s_delay_alu instid0(VALU_DEP_1) | instskip(NEXT) | instid1(VALU_DEP_1)
	v_fmac_f32_e32 v75, v79, v3
	v_fmac_f32_e32 v75, v80, v4
	v_mul_f32_e32 v5, v5, v85
	ds_load_b128 v[85:88], v67 offset:512
	ds_load_b128 v[89:92], v67 offset:528
	s_waitcnt lgkmcnt(2)
	v_dual_mul_f32 v1, v1, v81 :: v_dual_mul_f32 v2, v2, v82
	v_dual_mul_f32 v3, v3, v83 :: v_dual_mul_f32 v4, v4, v84
	s_waitcnt vmcnt(0) lgkmcnt(1)
	v_fmac_f32_e32 v61, v76, v85
	v_fmac_f32_e32 v62, v76, v86
	v_fmac_f32_e32 v63, v76, v87
	v_fmac_f32_e32 v64, v76, v88
	s_waitcnt lgkmcnt(0)
	v_fmac_f32_e32 v57, v76, v89
	v_fmac_f32_e32 v58, v76, v90
	v_fmac_f32_e32 v59, v76, v91
	v_fmac_f32_e32 v60, v76, v92
	ds_load_b128 v[85:88], v67 offset:544
	ds_load_b128 v[89:92], v67 offset:560
	s_waitcnt lgkmcnt(1)
	v_fmac_f32_e32 v53, v76, v85
	v_fmac_f32_e32 v54, v76, v86
	v_fmac_f32_e32 v55, v76, v87
	v_fmac_f32_e32 v56, v76, v88
	s_waitcnt lgkmcnt(0)
	v_fmac_f32_e32 v49, v76, v89
	v_fmac_f32_e32 v50, v76, v90
	v_fmac_f32_e32 v51, v76, v91
	v_fmac_f32_e32 v52, v76, v92
	ds_load_b128 v[85:88], v67 offset:576
	ds_load_b128 v[89:92], v67 offset:592
	s_waitcnt lgkmcnt(1)
	v_fmac_f32_e32 v45, v76, v85
	v_fmac_f32_e32 v46, v76, v86
	v_fmac_f32_e32 v47, v76, v87
	v_fmac_f32_e32 v48, v76, v88
	s_waitcnt lgkmcnt(0)
	v_fmac_f32_e32 v41, v76, v89
	v_fmac_f32_e32 v42, v76, v90
	v_fmac_f32_e32 v43, v76, v91
	v_fmac_f32_e32 v44, v76, v92
	ds_load_b128 v[85:88], v67 offset:608
	ds_load_b128 v[89:92], v67 offset:624
	s_waitcnt lgkmcnt(1)
	v_fmac_f32_e32 v37, v76, v85
	v_fmac_f32_e32 v38, v76, v86
	v_fmac_f32_e32 v39, v76, v87
	v_fmac_f32_e32 v40, v76, v88
	s_waitcnt lgkmcnt(0)
	v_fmac_f32_e32 v33, v76, v89
	v_fmac_f32_e32 v34, v76, v90
	v_fmac_f32_e32 v35, v76, v91
	v_fmac_f32_e32 v36, v76, v92
	ds_load_b128 v[85:88], v67 offset:640
	ds_load_b128 v[89:92], v67 offset:656
	s_waitcnt lgkmcnt(1)
	v_fmac_f32_e32 v30, v76, v86
	v_fmac_f32_e32 v32, v76, v88
	;; [unrolled: 1-line block ×3, first 2 shown]
	s_waitcnt lgkmcnt(0)
	v_fmac_f32_e32 v25, v76, v89
	v_fmac_f32_e32 v26, v76, v90
	;; [unrolled: 1-line block ×5, first 2 shown]
	ds_load_b128 v[85:88], v67 offset:672
	ds_load_b128 v[89:92], v67 offset:688
	s_waitcnt lgkmcnt(1)
	v_fmac_f32_e32 v21, v76, v85
	v_fmac_f32_e32 v22, v76, v86
	;; [unrolled: 1-line block ×4, first 2 shown]
	s_waitcnt lgkmcnt(0)
	v_fmac_f32_e32 v17, v76, v89
	v_fmac_f32_e32 v18, v76, v90
	;; [unrolled: 1-line block ×4, first 2 shown]
	ds_load_b128 v[85:88], v67 offset:704
	ds_load_b128 v[89:92], v67 offset:720
	s_waitcnt lgkmcnt(1)
	v_fmac_f32_e32 v13, v76, v85
	v_fmac_f32_e32 v14, v76, v86
	;; [unrolled: 1-line block ×4, first 2 shown]
	s_waitcnt lgkmcnt(0)
	v_fmac_f32_e32 v9, v76, v89
	v_fmac_f32_e32 v10, v76, v90
	;; [unrolled: 1-line block ×4, first 2 shown]
	ds_load_b128 v[85:88], v67 offset:736
	ds_load_b128 v[89:92], v67 offset:752
	ds_load_b128 v[77:80], v67 offset:256
	ds_load_b128 v[81:84], v67 offset:272
	s_waitcnt lgkmcnt(3)
	v_fmac_f32_e32 v6, v76, v86
	v_fmac_f32_e32 v7, v76, v87
	s_waitcnt lgkmcnt(1)
	v_fmac_f32_e32 v61, v75, v77
	v_fmac_f32_e32 v62, v75, v78
	;; [unrolled: 1-line block ×4, first 2 shown]
	ds_load_b128 v[77:80], v67 offset:288
	s_waitcnt lgkmcnt(1)
	v_fmac_f32_e32 v57, v75, v81
	v_fmac_f32_e32 v58, v75, v82
	;; [unrolled: 1-line block ×4, first 2 shown]
	ds_load_b128 v[81:84], v67 offset:304
	v_fmac_f32_e32 v5, v76, v85
	v_fmac_f32_e32 v8, v76, v88
	;; [unrolled: 1-line block ×6, first 2 shown]
	v_add_co_u32 v76, vcc_lo, s30, v69
	s_waitcnt lgkmcnt(1)
	v_fmac_f32_e32 v53, v75, v77
	v_fmac_f32_e32 v54, v75, v78
	v_fmac_f32_e32 v55, v75, v79
	v_fmac_f32_e32 v56, v75, v80
	ds_load_b128 v[77:80], v67 offset:320
	s_waitcnt lgkmcnt(1)
	v_fmac_f32_e32 v49, v75, v81
	v_fmac_f32_e32 v50, v75, v82
	v_fmac_f32_e32 v51, v75, v83
	v_fmac_f32_e32 v52, v75, v84
	ds_load_b128 v[81:84], v67 offset:336
	;; [unrolled: 6-line block ×13, first 2 shown]
	ds_load_b128 v[85:88], v67 offset:784
	s_waitcnt lgkmcnt(2)
	v_fmac_f32_e32 v1, v75, v81
	v_fmac_f32_e32 v2, v75, v82
	;; [unrolled: 1-line block ×4, first 2 shown]
	s_waitcnt lgkmcnt(1)
	v_fma_f32 v93, v61, v77, 0
	s_delay_alu instid0(VALU_DEP_1) | instskip(NEXT) | instid1(VALU_DEP_1)
	v_fmac_f32_e32 v93, v62, v78
	v_fmac_f32_e32 v93, v63, v79
	s_delay_alu instid0(VALU_DEP_1) | instskip(SKIP_1) | instid1(VALU_DEP_1)
	v_fmac_f32_e32 v93, v64, v80
	s_waitcnt lgkmcnt(0)
	v_fmac_f32_e32 v93, v57, v85
	s_delay_alu instid0(VALU_DEP_1) | instskip(NEXT) | instid1(VALU_DEP_1)
	v_fmac_f32_e32 v93, v58, v86
	v_fmac_f32_e32 v93, v59, v87
	s_delay_alu instid0(VALU_DEP_1) | instskip(SKIP_4) | instid1(VALU_DEP_1)
	v_fmac_f32_e32 v93, v60, v88
	ds_load_b128 v[77:80], v67 offset:800
	ds_load_b128 v[85:88], v67 offset:816
	s_waitcnt lgkmcnt(1)
	v_fmac_f32_e32 v93, v53, v77
	v_fmac_f32_e32 v93, v54, v78
	s_delay_alu instid0(VALU_DEP_1) | instskip(NEXT) | instid1(VALU_DEP_1)
	v_fmac_f32_e32 v93, v55, v79
	v_fmac_f32_e32 v93, v56, v80
	s_waitcnt lgkmcnt(0)
	s_delay_alu instid0(VALU_DEP_1) | instskip(NEXT) | instid1(VALU_DEP_1)
	v_fmac_f32_e32 v93, v49, v85
	v_fmac_f32_e32 v93, v50, v86
	s_delay_alu instid0(VALU_DEP_1) | instskip(NEXT) | instid1(VALU_DEP_1)
	v_fmac_f32_e32 v93, v51, v87
	v_fmac_f32_e32 v93, v52, v88
	ds_load_b128 v[77:80], v67 offset:832
	ds_load_b128 v[85:88], v67 offset:848
	s_waitcnt lgkmcnt(1)
	v_fmac_f32_e32 v93, v45, v77
	s_delay_alu instid0(VALU_DEP_1) | instskip(NEXT) | instid1(VALU_DEP_1)
	v_fmac_f32_e32 v93, v46, v78
	v_fmac_f32_e32 v93, v47, v79
	s_delay_alu instid0(VALU_DEP_1) | instskip(SKIP_1) | instid1(VALU_DEP_1)
	v_fmac_f32_e32 v93, v48, v80
	s_waitcnt lgkmcnt(0)
	v_fmac_f32_e32 v93, v41, v85
	s_delay_alu instid0(VALU_DEP_1) | instskip(NEXT) | instid1(VALU_DEP_1)
	v_fmac_f32_e32 v93, v42, v86
	v_fmac_f32_e32 v93, v43, v87
	s_delay_alu instid0(VALU_DEP_1) | instskip(SKIP_4) | instid1(VALU_DEP_1)
	v_fmac_f32_e32 v93, v44, v88
	ds_load_b128 v[77:80], v67 offset:864
	ds_load_b128 v[85:88], v67 offset:880
	s_waitcnt lgkmcnt(1)
	v_fmac_f32_e32 v93, v37, v77
	v_fmac_f32_e32 v93, v38, v78
	s_delay_alu instid0(VALU_DEP_1) | instskip(NEXT) | instid1(VALU_DEP_1)
	v_fmac_f32_e32 v93, v39, v79
	v_fmac_f32_e32 v93, v40, v80
	s_waitcnt lgkmcnt(0)
	s_delay_alu instid0(VALU_DEP_1) | instskip(NEXT) | instid1(VALU_DEP_1)
	v_fmac_f32_e32 v93, v33, v85
	v_fmac_f32_e32 v93, v34, v86
	s_delay_alu instid0(VALU_DEP_1) | instskip(NEXT) | instid1(VALU_DEP_1)
	v_fmac_f32_e32 v93, v35, v87
	v_fmac_f32_e32 v93, v36, v88
	ds_load_b128 v[77:80], v67 offset:896
	ds_load_b128 v[85:88], v67 offset:912
	s_waitcnt lgkmcnt(1)
	v_fmac_f32_e32 v93, v29, v77
	;; [unrolled: 31-line block ×3, first 2 shown]
	s_delay_alu instid0(VALU_DEP_1) | instskip(NEXT) | instid1(VALU_DEP_1)
	v_fmac_f32_e32 v93, v14, v78
	v_fmac_f32_e32 v93, v15, v79
	s_delay_alu instid0(VALU_DEP_1) | instskip(SKIP_1) | instid1(VALU_DEP_1)
	v_fmac_f32_e32 v93, v16, v80
	s_waitcnt lgkmcnt(0)
	v_fmac_f32_e32 v93, v9, v85
	s_delay_alu instid0(VALU_DEP_1) | instskip(NEXT) | instid1(VALU_DEP_1)
	v_fmac_f32_e32 v93, v10, v86
	v_fmac_f32_e32 v93, v11, v87
	s_delay_alu instid0(VALU_DEP_1)
	v_fmac_f32_e32 v93, v12, v88
	ds_load_b128 v[77:80], v67 offset:992
	ds_load_b128 v[85:88], v67 offset:1008
	s_waitcnt lgkmcnt(1)
	v_fmac_f32_e32 v93, v5, v77
	v_add_co_ci_u32_e32 v77, vcc_lo, s31, v70, vcc_lo
	v_add_co_u32 v69, vcc_lo, v69, s2
	s_delay_alu instid0(VALU_DEP_3) | instskip(SKIP_1) | instid1(VALU_DEP_2)
	v_fmac_f32_e32 v93, v6, v78
	v_add_co_ci_u32_e32 v70, vcc_lo, s3, v70, vcc_lo
	v_fmac_f32_e32 v93, v7, v79
	s_delay_alu instid0(VALU_DEP_1) | instskip(SKIP_1) | instid1(VALU_DEP_1)
	v_fmac_f32_e32 v93, v8, v80
	s_waitcnt lgkmcnt(0)
	v_fmac_f32_e32 v93, v1, v85
	s_delay_alu instid0(VALU_DEP_1) | instskip(NEXT) | instid1(VALU_DEP_1)
	v_fmac_f32_e32 v93, v2, v86
	v_fmac_f32_e32 v93, v3, v87
	s_delay_alu instid0(VALU_DEP_1)
	v_fmac_f32_e32 v93, v4, v88
	global_store_b32 v[76:77], v93, off
	s_and_not1_b32 exec_lo, exec_lo, s4
	s_cbranch_execnz .LBB2_2
; %bb.3:
	s_or_b32 exec_lo, exec_lo, s4
.LBB2_4:
	s_delay_alu instid0(SALU_CYCLE_1) | instskip(SKIP_1) | instid1(VALU_DEP_1)
	s_or_b32 exec_lo, exec_lo, s1
	v_mad_u64_u32 v[66:67], null, s6, s5, v[65:66]
	v_ashrrev_i32_e32 v67, 31, v66
	s_delay_alu instid0(VALU_DEP_1) | instskip(NEXT) | instid1(VALU_DEP_1)
	v_lshlrev_b64 v[65:66], 2, v[66:67]
	v_add_co_u32 v65, vcc_lo, s30, v65
	s_delay_alu instid0(VALU_DEP_2)
	v_add_co_ci_u32_e32 v66, vcc_lo, s31, v66, vcc_lo
	s_waitcnt vmcnt(15)
	global_store_b128 v[65:66], v[61:64], off
	s_waitcnt vmcnt(14)
	global_store_b128 v[65:66], v[57:60], off offset:16
	s_waitcnt vmcnt(13)
	global_store_b128 v[65:66], v[53:56], off offset:32
	;; [unrolled: 2-line block ×15, first 2 shown]
	s_nop 0
	s_sendmsg sendmsg(MSG_DEALLOC_VGPRS)
	s_endpgm
	.section	.rodata,"a",@progbits
	.p2align	6, 0x0
	.amdhsa_kernel _ZL13rwkv_wkv7_f32ILi64EEviiiiPKfS1_S1_S1_S1_S1_S1_Pf
		.amdhsa_group_segment_fixed_size 1280
		.amdhsa_private_segment_fixed_size 0
		.amdhsa_kernarg_size 80
		.amdhsa_user_sgpr_count 15
		.amdhsa_user_sgpr_dispatch_ptr 0
		.amdhsa_user_sgpr_queue_ptr 0
		.amdhsa_user_sgpr_kernarg_segment_ptr 1
		.amdhsa_user_sgpr_dispatch_id 0
		.amdhsa_user_sgpr_private_segment_size 0
		.amdhsa_wavefront_size32 1
		.amdhsa_uses_dynamic_stack 0
		.amdhsa_enable_private_segment 0
		.amdhsa_system_sgpr_workgroup_id_x 1
		.amdhsa_system_sgpr_workgroup_id_y 0
		.amdhsa_system_sgpr_workgroup_id_z 0
		.amdhsa_system_sgpr_workgroup_info 0
		.amdhsa_system_vgpr_workitem_id 0
		.amdhsa_next_free_vgpr 94
		.amdhsa_next_free_sgpr 32
		.amdhsa_reserve_vcc 1
		.amdhsa_float_round_mode_32 0
		.amdhsa_float_round_mode_16_64 0
		.amdhsa_float_denorm_mode_32 3
		.amdhsa_float_denorm_mode_16_64 3
		.amdhsa_dx10_clamp 1
		.amdhsa_ieee_mode 1
		.amdhsa_fp16_overflow 0
		.amdhsa_workgroup_processor_mode 1
		.amdhsa_memory_ordered 1
		.amdhsa_forward_progress 0
		.amdhsa_shared_vgpr_count 0
		.amdhsa_exception_fp_ieee_invalid_op 0
		.amdhsa_exception_fp_denorm_src 0
		.amdhsa_exception_fp_ieee_div_zero 0
		.amdhsa_exception_fp_ieee_overflow 0
		.amdhsa_exception_fp_ieee_underflow 0
		.amdhsa_exception_fp_ieee_inexact 0
		.amdhsa_exception_int_div_zero 0
	.end_amdhsa_kernel
	.section	.text._ZL13rwkv_wkv7_f32ILi64EEviiiiPKfS1_S1_S1_S1_S1_S1_Pf,"axG",@progbits,_ZL13rwkv_wkv7_f32ILi64EEviiiiPKfS1_S1_S1_S1_S1_S1_Pf,comdat
.Lfunc_end2:
	.size	_ZL13rwkv_wkv7_f32ILi64EEviiiiPKfS1_S1_S1_S1_S1_S1_Pf, .Lfunc_end2-_ZL13rwkv_wkv7_f32ILi64EEviiiiPKfS1_S1_S1_S1_S1_S1_Pf
                                        ; -- End function
	.section	.AMDGPU.csdata,"",@progbits
; Kernel info:
; codeLenInByte = 3596
; NumSgprs: 34
; NumVgprs: 94
; ScratchSize: 0
; MemoryBound: 0
; FloatMode: 240
; IeeeMode: 1
; LDSByteSize: 1280 bytes/workgroup (compile time only)
; SGPRBlocks: 4
; VGPRBlocks: 11
; NumSGPRsForWavesPerEU: 34
; NumVGPRsForWavesPerEU: 94
; Occupancy: 16
; WaveLimiterHint : 0
; COMPUTE_PGM_RSRC2:SCRATCH_EN: 0
; COMPUTE_PGM_RSRC2:USER_SGPR: 15
; COMPUTE_PGM_RSRC2:TRAP_HANDLER: 0
; COMPUTE_PGM_RSRC2:TGID_X_EN: 1
; COMPUTE_PGM_RSRC2:TGID_Y_EN: 0
; COMPUTE_PGM_RSRC2:TGID_Z_EN: 0
; COMPUTE_PGM_RSRC2:TIDIG_COMP_CNT: 0
	.section	.text._ZL13rwkv_wkv7_f32ILi128EEviiiiPKfS1_S1_S1_S1_S1_S1_Pf,"axG",@progbits,_ZL13rwkv_wkv7_f32ILi128EEviiiiPKfS1_S1_S1_S1_S1_S1_Pf,comdat
	.globl	_ZL13rwkv_wkv7_f32ILi128EEviiiiPKfS1_S1_S1_S1_S1_S1_Pf ; -- Begin function _ZL13rwkv_wkv7_f32ILi128EEviiiiPKfS1_S1_S1_S1_S1_S1_Pf
	.p2align	8
	.type	_ZL13rwkv_wkv7_f32ILi128EEviiiiPKfS1_S1_S1_S1_S1_S1_Pf,@function
_ZL13rwkv_wkv7_f32ILi128EEviiiiPKfS1_S1_S1_S1_S1_S1_Pf: ; @_ZL13rwkv_wkv7_f32ILi128EEviiiiPKfS1_S1_S1_S1_S1_S1_Pf
; %bb.0:
	s_load_b128 s[4:7], s[0:1], 0x0
	s_abs_i32 s9, s15
	s_load_b512 s[16:31], s[0:1], 0x10
	s_waitcnt lgkmcnt(0)
	s_abs_i32 s2, s7
	s_delay_alu instid0(SALU_CYCLE_1) | instskip(SKIP_1) | instid1(VALU_DEP_1)
	v_cvt_f32_u32_e32 v1, s2
	s_sub_i32 s8, 0, s2
	v_rcp_iflag_f32_e32 v1, v1
	s_waitcnt_depctr 0xfff
	v_mul_f32_e32 v1, 0x4f7ffffe, v1
	s_delay_alu instid0(VALU_DEP_1) | instskip(NEXT) | instid1(VALU_DEP_1)
	v_cvt_u32_f32_e32 v1, v1
	v_readfirstlane_b32 s3, v1
	v_lshlrev_b32_e32 v1, 7, v0
	s_delay_alu instid0(VALU_DEP_2) | instskip(NEXT) | instid1(SALU_CYCLE_1)
	s_mul_i32 s8, s8, s3
	s_mul_hi_u32 s8, s3, s8
	s_delay_alu instid0(SALU_CYCLE_1) | instskip(SKIP_4) | instid1(SALU_CYCLE_1)
	s_add_i32 s3, s3, s8
	s_xor_b32 s8, s15, s7
	s_mul_hi_u32 s3, s9, s3
	s_ashr_i32 s8, s8, 31
	s_mul_i32 s10, s3, s2
	s_sub_i32 s9, s9, s10
	s_add_i32 s10, s3, 1
	s_sub_i32 s11, s9, s2
	s_cmp_ge_u32 s9, s2
	s_cselect_b32 s3, s10, s3
	s_cselect_b32 s9, s11, s9
	s_add_i32 s10, s3, 1
	s_cmp_ge_u32 s9, s2
	s_cselect_b32 s2, s10, s3
	s_delay_alu instid0(SALU_CYCLE_1) | instskip(NEXT) | instid1(SALU_CYCLE_1)
	s_xor_b32 s2, s2, s8
	s_sub_i32 s0, s2, s8
	s_abs_i32 s8, s5
	s_mul_i32 s1, s0, s7
	s_mul_i32 s2, s6, s0
	s_sub_i32 s1, s15, s1
	s_lshl_b32 s2, s2, 7
	s_lshl_b32 s3, s1, 14
	s_delay_alu instid0(SALU_CYCLE_1)
	v_add3_u32 v137, s3, s2, v1
	s_abs_i32 s2, s4
	s_xor_b32 s4, s5, s4
	v_cvt_f32_u32_e32 v129, s2
	s_sub_i32 s7, 0, s2
	v_ashrrev_i32_e32 v138, 31, v137
	s_ashr_i32 s4, s4, 31
	s_delay_alu instid0(VALU_DEP_2) | instskip(NEXT) | instid1(VALU_DEP_1)
	v_rcp_iflag_f32_e32 v129, v129
	v_lshlrev_b64 v[1:2], 2, v[137:138]
	s_delay_alu instid0(VALU_DEP_1) | instskip(NEXT) | instid1(VALU_DEP_2)
	v_add_co_u32 v1, vcc_lo, s28, v1
	v_add_co_ci_u32_e32 v2, vcc_lo, s29, v2, vcc_lo
	s_waitcnt_depctr 0xfff
	v_mul_f32_e32 v129, 0x4f7ffffe, v129
	s_clause 0x1f
	global_load_b128 v[125:128], v[1:2], off
	global_load_b128 v[121:124], v[1:2], off offset:16
	global_load_b128 v[117:120], v[1:2], off offset:32
	;; [unrolled: 1-line block ×31, first 2 shown]
	v_cvt_u32_f32_e32 v129, v129
	s_delay_alu instid0(VALU_DEP_1) | instskip(SKIP_1) | instid1(VALU_DEP_2)
	v_readfirstlane_b32 s3, v129
	v_lshl_add_u32 v129, s1, 7, v0
	s_mul_i32 s7, s7, s3
	s_delay_alu instid0(SALU_CYCLE_1) | instskip(NEXT) | instid1(SALU_CYCLE_1)
	s_mul_hi_u32 s7, s3, s7
	s_add_i32 s3, s3, s7
	s_delay_alu instid0(SALU_CYCLE_1) | instskip(NEXT) | instid1(SALU_CYCLE_1)
	s_mul_hi_u32 s3, s8, s3
	s_mul_i32 s7, s3, s2
	s_delay_alu instid0(SALU_CYCLE_1)
	s_sub_i32 s7, s8, s7
	s_add_i32 s8, s3, 1
	s_sub_i32 s9, s7, s2
	s_cmp_ge_u32 s7, s2
	s_cselect_b32 s3, s8, s3
	s_cselect_b32 s7, s9, s7
	s_add_i32 s8, s3, 1
	s_cmp_ge_u32 s7, s2
	s_cselect_b32 s2, s8, s3
	s_delay_alu instid0(SALU_CYCLE_1) | instskip(NEXT) | instid1(SALU_CYCLE_1)
	s_xor_b32 s2, s2, s4
	s_sub_i32 s1, s2, s4
	s_add_i32 s2, s0, 1
	s_mul_i32 s1, s1, s6
	s_mov_b32 s4, 0
	v_mad_u64_u32 v[138:139], null, s1, s0, v[129:130]
	v_mad_u64_u32 v[140:141], null, s1, s2, v[129:130]
	s_mov_b32 s1, exec_lo
	s_delay_alu instid0(VALU_DEP_1)
	v_cmpx_lt_i32_e64 v138, v140
	s_cbranch_execz .LBB3_4
; %bb.1:
	v_ashrrev_i32_e32 v139, 31, v138
	v_lshlrev_b32_e32 v0, 2, v0
	s_ashr_i32 s7, s6, 31
	s_delay_alu instid0(SALU_CYCLE_1) | instskip(NEXT) | instid1(VALU_DEP_2)
	s_lshl_b64 s[2:3], s[6:7], 2
	v_lshlrev_b64 v[141:142], 2, v[138:139]
	v_mov_b32_e32 v139, 0
	v_add_nc_u32_e32 v145, 0x600, v0
	v_add_nc_u32_e32 v146, 0x800, v0
	;; [unrolled: 1-line block ×4, first 2 shown]
.LBB3_2:                                ; =>This Inner Loop Header: Depth=1
	v_add_co_u32 v129, vcc_lo, s16, v141
	v_add_co_ci_u32_e32 v130, vcc_lo, s17, v142, vcc_lo
	v_add_co_u32 v131, vcc_lo, s18, v141
	v_add_co_ci_u32_e32 v132, vcc_lo, s19, v142, vcc_lo
	;; [unrolled: 2-line block ×5, first 2 shown]
	s_waitcnt vmcnt(0)
	s_waitcnt_vscnt null, 0x0
	s_barrier
	buffer_gl0_inv
	global_load_b32 v129, v[129:130], off
	global_load_b32 v130, v[131:132], off
	;; [unrolled: 1-line block ×5, first 2 shown]
	v_add_co_u32 v161, vcc_lo, s22, v141
	v_add_co_ci_u32_e32 v162, vcc_lo, s23, v142, vcc_lo
	s_waitcnt vmcnt(4)
	ds_store_b32 v145, v129
	s_waitcnt vmcnt(3)
	ds_store_b32 v146, v130
	;; [unrolled: 2-line block ×5, first 2 shown]
	s_waitcnt lgkmcnt(0)
	s_barrier
	buffer_gl0_inv
	ds_load_b128 v[129:132], v139
	ds_load_b128 v[133:136], v139 offset:16
	ds_load_b128 v[149:152], v139 offset:2048
	;; [unrolled: 1-line block ×4, first 2 shown]
	global_load_b32 v144, v[161:162], off
	ds_load_b128 v[161:164], v139 offset:496
	v_add_nc_u32_e32 v138, s6, v138
	s_delay_alu instid0(VALU_DEP_1) | instskip(NEXT) | instid1(VALU_DEP_1)
	v_cmp_ge_i32_e64 s0, v138, v140
	s_or_b32 s4, s0, s4
	s_waitcnt lgkmcnt(5)
	v_fma_f32 v143, v129, v125, 0
	s_waitcnt lgkmcnt(3)
	v_mul_f32_e32 v125, v125, v149
	s_delay_alu instid0(VALU_DEP_2) | instskip(NEXT) | instid1(VALU_DEP_1)
	v_fmac_f32_e32 v143, v130, v126
	v_dual_mul_f32 v126, v126, v150 :: v_dual_fmac_f32 v143, v131, v127
	v_mul_f32_e32 v127, v127, v151
	s_delay_alu instid0(VALU_DEP_2) | instskip(SKIP_4) | instid1(VALU_DEP_1)
	v_fmac_f32_e32 v143, v132, v128
	v_mul_f32_e32 v128, v128, v152
	ds_load_b128 v[149:152], v139 offset:2080
	ds_load_b128 v[129:132], v139 offset:48
	v_fmac_f32_e32 v143, v133, v121
	v_fmac_f32_e32 v143, v134, v122
	s_waitcnt lgkmcnt(4)
	s_delay_alu instid0(VALU_DEP_1) | instskip(SKIP_1) | instid1(VALU_DEP_2)
	v_dual_mul_f32 v122, v122, v154 :: v_dual_fmac_f32 v143, v135, v123
	v_mul_f32_e32 v123, v123, v155
	v_fmac_f32_e32 v143, v136, v124
	ds_load_b128 v[133:136], v139 offset:2096
	s_waitcnt lgkmcnt(4)
	v_dual_mul_f32 v124, v124, v156 :: v_dual_fmac_f32 v143, v157, v117
	s_waitcnt lgkmcnt(2)
	v_mul_f32_e32 v117, v117, v149
	s_delay_alu instid0(VALU_DEP_2) | instskip(NEXT) | instid1(VALU_DEP_1)
	v_fmac_f32_e32 v143, v158, v118
	v_dual_mul_f32 v118, v118, v150 :: v_dual_fmac_f32 v143, v159, v119
	v_mul_f32_e32 v119, v119, v151
	s_delay_alu instid0(VALU_DEP_2)
	v_fmac_f32_e32 v143, v160, v120
	v_mul_f32_e32 v120, v120, v152
	ds_load_b128 v[149:152], v139 offset:2112
	v_mul_f32_e32 v121, v121, v153
	ds_load_b128 v[153:156], v139 offset:64
	s_waitcnt lgkmcnt(3)
	v_fmac_f32_e32 v143, v129, v113
	ds_load_b128 v[157:160], v139 offset:80
	s_waitcnt lgkmcnt(3)
	v_mul_f32_e32 v113, v113, v133
	v_fmac_f32_e32 v143, v130, v114
	s_delay_alu instid0(VALU_DEP_1) | instskip(SKIP_1) | instid1(VALU_DEP_2)
	v_dual_mul_f32 v114, v114, v134 :: v_dual_fmac_f32 v143, v131, v115
	v_mul_f32_e32 v115, v115, v135
	v_fmac_f32_e32 v143, v132, v116
	v_mul_f32_e32 v116, v116, v136
	ds_load_b128 v[133:136], v139 offset:96
	ds_load_b128 v[129:132], v139 offset:2128
	s_waitcnt lgkmcnt(3)
	v_fmac_f32_e32 v143, v153, v109
	v_mul_f32_e32 v109, v109, v149
	s_delay_alu instid0(VALU_DEP_2) | instskip(NEXT) | instid1(VALU_DEP_1)
	v_fmac_f32_e32 v143, v154, v110
	v_dual_mul_f32 v110, v110, v150 :: v_dual_fmac_f32 v143, v155, v111
	v_mul_f32_e32 v111, v111, v151
	s_delay_alu instid0(VALU_DEP_2)
	v_fmac_f32_e32 v143, v156, v112
	ds_load_b128 v[153:156], v139 offset:112
	v_mul_f32_e32 v112, v112, v152
	ds_load_b128 v[149:152], v139 offset:2144
	s_waitcnt lgkmcnt(4)
	v_fmac_f32_e32 v143, v157, v105
	s_waitcnt lgkmcnt(2)
	v_mul_f32_e32 v105, v105, v129
	s_delay_alu instid0(VALU_DEP_2) | instskip(NEXT) | instid1(VALU_DEP_1)
	v_fmac_f32_e32 v143, v158, v106
	v_dual_mul_f32 v106, v106, v130 :: v_dual_fmac_f32 v143, v159, v107
	v_mul_f32_e32 v107, v107, v131
	s_delay_alu instid0(VALU_DEP_2)
	v_fmac_f32_e32 v143, v160, v108
	ds_load_b128 v[157:160], v139 offset:2160
	v_mul_f32_e32 v108, v108, v132
	ds_load_b128 v[129:132], v139 offset:128
	v_fmac_f32_e32 v143, v133, v101
	s_waitcnt lgkmcnt(2)
	v_mul_f32_e32 v101, v101, v149
	s_delay_alu instid0(VALU_DEP_2) | instskip(NEXT) | instid1(VALU_DEP_1)
	v_fmac_f32_e32 v143, v134, v102
	v_dual_mul_f32 v102, v102, v150 :: v_dual_fmac_f32 v143, v135, v103
	v_mul_f32_e32 v103, v103, v151
	s_delay_alu instid0(VALU_DEP_2)
	v_fmac_f32_e32 v143, v136, v104
	v_mul_f32_e32 v104, v104, v152
	ds_load_b128 v[149:152], v139 offset:2176
	ds_load_b128 v[133:136], v139 offset:144
	v_fmac_f32_e32 v143, v153, v97
	s_waitcnt lgkmcnt(3)
	v_mul_f32_e32 v97, v97, v157
	s_delay_alu instid0(VALU_DEP_2) | instskip(NEXT) | instid1(VALU_DEP_1)
	v_fmac_f32_e32 v143, v154, v98
	v_dual_mul_f32 v98, v98, v158 :: v_dual_fmac_f32 v143, v155, v99
	v_mul_f32_e32 v99, v99, v159
	s_delay_alu instid0(VALU_DEP_2)
	v_fmac_f32_e32 v143, v156, v100
	v_mul_f32_e32 v100, v100, v160
	ds_load_b128 v[153:156], v139 offset:2192
	ds_load_b128 v[157:160], v139 offset:160
	s_waitcnt lgkmcnt(4)
	v_fmac_f32_e32 v143, v129, v93
	s_delay_alu instid0(VALU_DEP_1) | instskip(SKIP_1) | instid1(VALU_DEP_1)
	v_fmac_f32_e32 v143, v130, v94
	s_waitcnt lgkmcnt(3)
	v_dual_mul_f32 v94, v94, v150 :: v_dual_fmac_f32 v143, v131, v95
	s_delay_alu instid0(VALU_DEP_1)
	v_fmac_f32_e32 v143, v132, v96
	ds_load_b128 v[129:132], v139 offset:176
	v_dual_mul_f32 v96, v96, v152 :: v_dual_mul_f32 v93, v93, v149
	s_waitcnt lgkmcnt(3)
	v_fmac_f32_e32 v143, v133, v89
	s_waitcnt lgkmcnt(2)
	v_mul_f32_e32 v89, v89, v153
	s_delay_alu instid0(VALU_DEP_2) | instskip(SKIP_4) | instid1(VALU_DEP_2)
	v_fmac_f32_e32 v143, v134, v90
	v_dual_mul_f32 v90, v90, v154 :: v_dual_mul_f32 v95, v95, v151
	ds_load_b128 v[149:152], v139 offset:2208
	v_fmac_f32_e32 v143, v135, v91
	v_mul_f32_e32 v91, v91, v155
	v_fmac_f32_e32 v143, v136, v92
	v_mul_f32_e32 v92, v92, v156
	ds_load_b128 v[153:156], v139 offset:192
	ds_load_b128 v[133:136], v139 offset:2224
	s_waitcnt lgkmcnt(4)
	v_fmac_f32_e32 v143, v157, v85
	s_delay_alu instid0(VALU_DEP_1) | instskip(SKIP_2) | instid1(VALU_DEP_2)
	v_fmac_f32_e32 v143, v158, v86
	s_waitcnt lgkmcnt(2)
	v_dual_mul_f32 v85, v85, v149 :: v_dual_mul_f32 v86, v86, v150
	v_fmac_f32_e32 v143, v159, v87
	s_delay_alu instid0(VALU_DEP_1) | instskip(SKIP_4) | instid1(VALU_DEP_2)
	v_fmac_f32_e32 v143, v160, v88
	ds_load_b128 v[157:160], v139 offset:208
	v_dual_mul_f32 v88, v88, v152 :: v_dual_fmac_f32 v143, v129, v77
	s_waitcnt lgkmcnt(1)
	v_mul_f32_e32 v77, v77, v133
	v_fmac_f32_e32 v143, v130, v78
	s_delay_alu instid0(VALU_DEP_1) | instskip(SKIP_1) | instid1(VALU_DEP_2)
	v_dual_mul_f32 v78, v78, v134 :: v_dual_fmac_f32 v143, v131, v79
	v_mul_f32_e32 v79, v79, v135
	v_fmac_f32_e32 v143, v132, v80
	v_mul_f32_e32 v80, v80, v136
	ds_load_b128 v[133:136], v139 offset:224
	ds_load_b128 v[129:132], v139 offset:2256
	v_fmac_f32_e32 v143, v153, v81
	s_delay_alu instid0(VALU_DEP_1) | instskip(NEXT) | instid1(VALU_DEP_1)
	v_fmac_f32_e32 v143, v154, v82
	v_fmac_f32_e32 v143, v155, v83
	s_delay_alu instid0(VALU_DEP_1)
	v_fmac_f32_e32 v143, v156, v84
	ds_load_b128 v[153:156], v139 offset:2272
	s_waitcnt lgkmcnt(3)
	v_fmac_f32_e32 v143, v157, v73
	s_waitcnt lgkmcnt(1)
	v_mul_f32_e32 v73, v73, v129
	s_delay_alu instid0(VALU_DEP_2) | instskip(NEXT) | instid1(VALU_DEP_1)
	v_fmac_f32_e32 v143, v158, v74
	v_dual_mul_f32 v74, v74, v130 :: v_dual_fmac_f32 v143, v159, v75
	v_mul_f32_e32 v75, v75, v131
	s_delay_alu instid0(VALU_DEP_2) | instskip(SKIP_4) | instid1(VALU_DEP_1)
	v_fmac_f32_e32 v143, v160, v76
	ds_load_b128 v[157:160], v139 offset:1040
	v_mul_f32_e32 v76, v76, v132
	ds_load_b128 v[129:132], v139 offset:240
	v_fmac_f32_e32 v143, v133, v69
	v_fmac_f32_e32 v143, v134, v70
	s_delay_alu instid0(VALU_DEP_1) | instskip(NEXT) | instid1(VALU_DEP_1)
	v_fmac_f32_e32 v143, v135, v71
	v_fmac_f32_e32 v143, v136, v72
	ds_load_b128 v[133:136], v139 offset:2288
	s_waitcnt lgkmcnt(3)
	v_dual_mul_f32 v70, v70, v154 :: v_dual_mul_f32 v87, v87, v151
	ds_load_b128 v[149:152], v139 offset:2240
	v_mul_f32_e32 v69, v69, v153
	v_dual_mul_f32 v71, v71, v155 :: v_dual_mul_f32 v72, v72, v156
	ds_load_b128 v[153:156], v139 offset:1056
	s_waitcnt vmcnt(0) lgkmcnt(4)
	v_fmac_f32_e32 v121, v144, v157
	v_fmac_f32_e32 v122, v144, v158
	;; [unrolled: 1-line block ×4, first 2 shown]
	ds_load_b128 v[157:160], v139 offset:1088
	s_waitcnt lgkmcnt(2)
	v_dual_mul_f32 v81, v81, v149 :: v_dual_mul_f32 v82, v82, v150
	v_dual_mul_f32 v83, v83, v151 :: v_dual_mul_f32 v84, v84, v152
	ds_load_b128 v[149:152], v139 offset:1024
	s_waitcnt lgkmcnt(0)
	v_fmac_f32_e32 v125, v144, v149
	v_fmac_f32_e32 v126, v144, v150
	v_fmac_f32_e32 v127, v144, v151
	v_fmac_f32_e32 v128, v144, v152
	ds_load_b128 v[149:152], v139 offset:1072
	v_fmac_f32_e32 v117, v144, v153
	v_fmac_f32_e32 v118, v144, v154
	v_fmac_f32_e32 v119, v144, v155
	v_fmac_f32_e32 v120, v144, v156
	ds_load_b128 v[153:156], v139 offset:1104
	;; [unrolled: 5-line block ×3, first 2 shown]
	s_waitcnt lgkmcnt(2)
	v_fmac_f32_e32 v113, v144, v149
	v_fmac_f32_e32 v114, v144, v150
	;; [unrolled: 1-line block ×4, first 2 shown]
	ds_load_b128 v[149:152], v139 offset:1120
	s_waitcnt lgkmcnt(2)
	v_fmac_f32_e32 v105, v144, v153
	v_fmac_f32_e32 v106, v144, v154
	v_fmac_f32_e32 v107, v144, v155
	v_fmac_f32_e32 v108, v144, v156
	ds_load_b128 v[153:156], v139 offset:1152
	s_waitcnt lgkmcnt(2)
	v_fmac_f32_e32 v98, v144, v158
	v_fmac_f32_e32 v100, v144, v160
	s_waitcnt lgkmcnt(1)
	v_fmac_f32_e32 v101, v144, v149
	v_fmac_f32_e32 v102, v144, v150
	;; [unrolled: 1-line block ×4, first 2 shown]
	ds_load_b128 v[149:152], v139 offset:1168
	v_fmac_f32_e32 v97, v144, v157
	v_fmac_f32_e32 v99, v144, v159
	ds_load_b128 v[157:160], v139 offset:1184
	s_waitcnt lgkmcnt(2)
	v_fmac_f32_e32 v94, v144, v154
	v_fmac_f32_e32 v96, v144, v156
	;; [unrolled: 1-line block ×3, first 2 shown]
	s_waitcnt lgkmcnt(1)
	v_fmac_f32_e32 v90, v144, v150
	v_fmac_f32_e32 v95, v144, v155
	ds_load_b128 v[153:156], v139 offset:1200
	v_fmac_f32_e32 v92, v144, v152
	s_waitcnt lgkmcnt(1)
	v_fmac_f32_e32 v85, v144, v157
	v_fmac_f32_e32 v86, v144, v158
	;; [unrolled: 1-line block ×4, first 2 shown]
	ds_load_b128 v[157:160], v139 offset:1232
	s_waitcnt lgkmcnt(1)
	v_fmac_f32_e32 v78, v144, v154
	v_fmac_f32_e32 v89, v144, v149
	;; [unrolled: 1-line block ×4, first 2 shown]
	ds_load_b128 v[149:152], v139 offset:1216
	v_fmac_f32_e32 v77, v144, v153
	s_waitcnt lgkmcnt(1)
	v_fmac_f32_e32 v73, v144, v157
	v_fmac_f32_e32 v74, v144, v158
	;; [unrolled: 1-line block ×4, first 2 shown]
	ds_load_b128 v[157:160], v139 offset:256
	v_fmac_f32_e32 v143, v129, v65
	v_mul_f32_e32 v65, v65, v133
	s_delay_alu instid0(VALU_DEP_2) | instskip(NEXT) | instid1(VALU_DEP_1)
	v_fmac_f32_e32 v143, v130, v66
	v_dual_mul_f32 v66, v66, v134 :: v_dual_fmac_f32 v143, v131, v67
	v_mul_f32_e32 v67, v67, v135
	s_waitcnt lgkmcnt(1)
	v_fmac_f32_e32 v81, v144, v149
	v_fmac_f32_e32 v82, v144, v150
	;; [unrolled: 1-line block ×3, first 2 shown]
	ds_load_b128 v[129:132], v139 offset:2304
	v_mul_f32_e32 v68, v68, v136
	ds_load_b128 v[133:136], v139 offset:2320
	v_fmac_f32_e32 v83, v144, v151
	s_waitcnt lgkmcnt(2)
	v_dual_fmac_f32 v143, v157, v61 :: v_dual_fmac_f32 v84, v144, v152
	ds_load_b128 v[149:152], v139 offset:1264
	v_fmac_f32_e32 v143, v158, v62
	s_delay_alu instid0(VALU_DEP_1) | instskip(NEXT) | instid1(VALU_DEP_1)
	v_fmac_f32_e32 v143, v159, v63
	v_fmac_f32_e32 v143, v160, v64
	s_waitcnt lgkmcnt(2)
	v_mul_f32_e32 v64, v64, v132
	v_fmac_f32_e32 v79, v144, v155
	ds_load_b128 v[153:156], v139 offset:1248
	v_dual_mul_f32 v61, v61, v129 :: v_dual_mul_f32 v62, v62, v130
	v_mul_f32_e32 v63, v63, v131
	s_waitcnt lgkmcnt(1)
	v_fmac_f32_e32 v65, v144, v149
	v_fmac_f32_e32 v66, v144, v150
	;; [unrolled: 1-line block ×4, first 2 shown]
	ds_load_b128 v[149:152], v139 offset:1280
	ds_load_b128 v[157:160], v139 offset:1296
	;; [unrolled: 1-line block ×3, first 2 shown]
	s_waitcnt lgkmcnt(3)
	v_fmac_f32_e32 v69, v144, v153
	v_fmac_f32_e32 v70, v144, v154
	;; [unrolled: 1-line block ×4, first 2 shown]
	ds_load_b128 v[153:156], v139 offset:272
	s_waitcnt lgkmcnt(3)
	v_fmac_f32_e32 v61, v144, v149
	v_fmac_f32_e32 v62, v144, v150
	;; [unrolled: 1-line block ×4, first 2 shown]
	ds_load_b128 v[149:152], v139 offset:304
	s_waitcnt lgkmcnt(1)
	v_fmac_f32_e32 v143, v153, v57
	v_mul_f32_e32 v57, v57, v133
	s_delay_alu instid0(VALU_DEP_2) | instskip(NEXT) | instid1(VALU_DEP_2)
	v_fmac_f32_e32 v143, v154, v58
	v_dual_mul_f32 v58, v58, v134 :: v_dual_fmac_f32 v57, v144, v157
	s_delay_alu instid0(VALU_DEP_2) | instskip(NEXT) | instid1(VALU_DEP_2)
	v_fmac_f32_e32 v143, v155, v59
	v_dual_mul_f32 v59, v59, v135 :: v_dual_fmac_f32 v58, v144, v158
	s_delay_alu instid0(VALU_DEP_2)
	v_fmac_f32_e32 v143, v156, v60
	ds_load_b128 v[153:156], v139 offset:2336
	v_mul_f32_e32 v60, v60, v136
	ds_load_b128 v[133:136], v139 offset:2352
	v_fmac_f32_e32 v59, v144, v159
	v_dual_fmac_f32 v143, v129, v53 :: v_dual_fmac_f32 v60, v144, v160
	ds_load_b128 v[157:160], v139 offset:1312
	v_fmac_f32_e32 v143, v130, v54
	s_delay_alu instid0(VALU_DEP_1) | instskip(NEXT) | instid1(VALU_DEP_1)
	v_fmac_f32_e32 v143, v131, v55
	v_fmac_f32_e32 v143, v132, v56
	s_waitcnt lgkmcnt(2)
	v_dual_mul_f32 v53, v53, v153 :: v_dual_mul_f32 v54, v54, v154
	v_dual_mul_f32 v55, v55, v155 :: v_dual_mul_f32 v56, v56, v156
	ds_load_b128 v[153:156], v139 offset:320
	v_fmac_f32_e32 v143, v149, v49
	ds_load_b128 v[129:132], v139 offset:1328
	s_waitcnt lgkmcnt(2)
	v_fmac_f32_e32 v53, v144, v157
	v_fmac_f32_e32 v54, v144, v158
	v_fmac_f32_e32 v55, v144, v159
	v_dual_fmac_f32 v143, v150, v50 :: v_dual_fmac_f32 v56, v144, v160
	ds_load_b128 v[157:160], v139 offset:336
	v_dual_mul_f32 v49, v49, v133 :: v_dual_mul_f32 v50, v50, v134
	v_fmac_f32_e32 v143, v151, v51
	v_mul_f32_e32 v51, v51, v135
	s_delay_alu instid0(VALU_DEP_2)
	v_fmac_f32_e32 v143, v152, v52
	ds_load_b128 v[149:152], v139 offset:2368
	v_mul_f32_e32 v52, v52, v136
	ds_load_b128 v[133:136], v139 offset:2384
	s_waitcnt lgkmcnt(4)
	v_fmac_f32_e32 v143, v153, v45
	s_waitcnt lgkmcnt(3)
	v_fmac_f32_e32 v49, v144, v129
	v_fmac_f32_e32 v50, v144, v130
	;; [unrolled: 1-line block ×3, first 2 shown]
	v_dual_fmac_f32 v52, v144, v132 :: v_dual_fmac_f32 v143, v154, v46
	ds_load_b128 v[129:132], v139 offset:1344
	v_fmac_f32_e32 v143, v155, v47
	s_delay_alu instid0(VALU_DEP_1)
	v_fmac_f32_e32 v143, v156, v48
	s_waitcnt lgkmcnt(2)
	v_dual_mul_f32 v45, v45, v149 :: v_dual_mul_f32 v46, v46, v150
	v_dual_mul_f32 v47, v47, v151 :: v_dual_mul_f32 v48, v48, v152
	ds_load_b128 v[149:152], v139 offset:352
	v_fmac_f32_e32 v143, v157, v41
	ds_load_b128 v[153:156], v139 offset:1360
	s_waitcnt lgkmcnt(3)
	v_mul_f32_e32 v41, v41, v133
	v_fmac_f32_e32 v143, v158, v42
	s_waitcnt lgkmcnt(2)
	v_fmac_f32_e32 v45, v144, v129
	v_fmac_f32_e32 v46, v144, v130
	v_fmac_f32_e32 v47, v144, v131
	v_dual_fmac_f32 v48, v144, v132 :: v_dual_fmac_f32 v143, v159, v43
	ds_load_b128 v[129:132], v139 offset:368
	v_dual_mul_f32 v42, v42, v134 :: v_dual_mul_f32 v43, v43, v135
	v_fmac_f32_e32 v143, v160, v44
	ds_load_b128 v[157:160], v139 offset:2400
	v_mul_f32_e32 v44, v44, v136
	ds_load_b128 v[133:136], v139 offset:2416
	s_waitcnt lgkmcnt(4)
	v_fmac_f32_e32 v143, v149, v37
	s_waitcnt lgkmcnt(3)
	v_fmac_f32_e32 v41, v144, v153
	v_fmac_f32_e32 v42, v144, v154
	;; [unrolled: 1-line block ×3, first 2 shown]
	v_dual_fmac_f32 v44, v144, v156 :: v_dual_fmac_f32 v143, v150, v38
	ds_load_b128 v[153:156], v139 offset:1376
	v_fmac_f32_e32 v143, v151, v39
	s_delay_alu instid0(VALU_DEP_1)
	v_fmac_f32_e32 v143, v152, v40
	ds_load_b128 v[149:152], v139 offset:1392
	s_waitcnt lgkmcnt(3)
	v_dual_mul_f32 v37, v37, v157 :: v_dual_mul_f32 v38, v38, v158
	v_dual_mul_f32 v39, v39, v159 :: v_dual_mul_f32 v40, v40, v160
	ds_load_b128 v[157:160], v139 offset:384
	v_fmac_f32_e32 v143, v129, v33
	s_waitcnt lgkmcnt(3)
	v_mul_f32_e32 v33, v33, v133
	s_waitcnt lgkmcnt(2)
	v_fmac_f32_e32 v37, v144, v153
	v_fmac_f32_e32 v143, v130, v34
	;; [unrolled: 1-line block ×5, first 2 shown]
	ds_load_b128 v[153:156], v139 offset:400
	v_dual_fmac_f32 v143, v131, v35 :: v_dual_mul_f32 v34, v34, v134
	v_mul_f32_e32 v35, v35, v135
	s_waitcnt lgkmcnt(2)
	v_fmac_f32_e32 v33, v144, v149
	s_delay_alu instid0(VALU_DEP_3)
	v_fmac_f32_e32 v143, v132, v36
	ds_load_b128 v[129:132], v139 offset:2432
	v_mul_f32_e32 v36, v36, v136
	ds_load_b128 v[133:136], v139 offset:2448
	s_waitcnt lgkmcnt(3)
	v_dual_fmac_f32 v34, v144, v150 :: v_dual_fmac_f32 v143, v157, v29
	v_fmac_f32_e32 v35, v144, v151
	v_fmac_f32_e32 v36, v144, v152
	ds_load_b128 v[149:152], v139 offset:1408
	v_fmac_f32_e32 v143, v158, v30
	s_delay_alu instid0(VALU_DEP_1) | instskip(NEXT) | instid1(VALU_DEP_1)
	v_fmac_f32_e32 v143, v159, v31
	v_fmac_f32_e32 v143, v160, v32
	ds_load_b128 v[157:160], v139 offset:1424
	s_waitcnt lgkmcnt(3)
	v_dual_mul_f32 v29, v29, v129 :: v_dual_mul_f32 v30, v30, v130
	v_dual_mul_f32 v31, v31, v131 :: v_dual_mul_f32 v32, v32, v132
	ds_load_b128 v[129:132], v139 offset:416
	v_fmac_f32_e32 v143, v153, v25
	s_waitcnt lgkmcnt(2)
	v_fmac_f32_e32 v29, v144, v149
	v_fmac_f32_e32 v30, v144, v150
	;; [unrolled: 1-line block ×3, first 2 shown]
	v_dual_fmac_f32 v32, v144, v152 :: v_dual_fmac_f32 v143, v154, v26
	ds_load_b128 v[149:152], v139 offset:432
	v_dual_mul_f32 v25, v25, v133 :: v_dual_mul_f32 v26, v26, v134
	v_fmac_f32_e32 v143, v155, v27
	v_mul_f32_e32 v27, v27, v135
	s_waitcnt lgkmcnt(2)
	s_delay_alu instid0(VALU_DEP_3) | instskip(NEXT) | instid1(VALU_DEP_3)
	v_fmac_f32_e32 v25, v144, v157
	v_fmac_f32_e32 v143, v156, v28
	ds_load_b128 v[153:156], v139 offset:2464
	v_mul_f32_e32 v28, v28, v136
	ds_load_b128 v[133:136], v139 offset:2480
	s_waitcnt lgkmcnt(3)
	v_dual_fmac_f32 v26, v144, v158 :: v_dual_fmac_f32 v143, v129, v21
	v_fmac_f32_e32 v27, v144, v159
	v_fmac_f32_e32 v28, v144, v160
	ds_load_b128 v[157:160], v139 offset:1440
	v_fmac_f32_e32 v143, v130, v22
	s_delay_alu instid0(VALU_DEP_1) | instskip(NEXT) | instid1(VALU_DEP_1)
	v_fmac_f32_e32 v143, v131, v23
	v_fmac_f32_e32 v143, v132, v24
	ds_load_b128 v[129:132], v139 offset:1456
	s_waitcnt lgkmcnt(3)
	v_dual_mul_f32 v21, v21, v153 :: v_dual_mul_f32 v22, v22, v154
	v_dual_mul_f32 v23, v23, v155 :: v_dual_mul_f32 v24, v24, v156
	ds_load_b128 v[153:156], v139 offset:448
	s_waitcnt lgkmcnt(2)
	v_dual_fmac_f32 v143, v149, v17 :: v_dual_fmac_f32 v22, v144, v158
	v_fmac_f32_e32 v21, v144, v157
	v_fmac_f32_e32 v24, v144, v160
	;; [unrolled: 1-line block ×3, first 2 shown]
	s_delay_alu instid0(VALU_DEP_4) | instskip(SKIP_3) | instid1(VALU_DEP_1)
	v_fmac_f32_e32 v143, v150, v18
	ds_load_b128 v[157:160], v139 offset:464
	v_dual_mul_f32 v18, v18, v134 :: v_dual_fmac_f32 v143, v151, v19
	s_waitcnt lgkmcnt(2)
	v_dual_mul_f32 v19, v19, v135 :: v_dual_fmac_f32 v18, v144, v130
	s_delay_alu instid0(VALU_DEP_2)
	v_fmac_f32_e32 v143, v152, v20
	ds_load_b128 v[149:152], v139 offset:2496
	v_dual_mul_f32 v17, v17, v133 :: v_dual_mul_f32 v20, v20, v136
	ds_load_b128 v[133:136], v139 offset:2512
	s_waitcnt lgkmcnt(3)
	v_dual_fmac_f32 v143, v153, v13 :: v_dual_fmac_f32 v20, v144, v132
	s_delay_alu instid0(VALU_DEP_1) | instskip(NEXT) | instid1(VALU_DEP_1)
	v_fmac_f32_e32 v143, v154, v14
	v_fmac_f32_e32 v143, v155, v15
	s_delay_alu instid0(VALU_DEP_1)
	v_fmac_f32_e32 v143, v156, v16
	s_waitcnt lgkmcnt(1)
	v_dual_mul_f32 v13, v13, v149 :: v_dual_mul_f32 v14, v14, v150
	v_dual_mul_f32 v15, v15, v151 :: v_dual_mul_f32 v16, v16, v152
	ds_load_b128 v[149:152], v139 offset:480
	v_fmac_f32_e32 v143, v157, v9
	ds_load_b128 v[153:156], v139 offset:1488
	v_fmac_f32_e32 v143, v158, v10
	s_waitcnt lgkmcnt(2)
	s_delay_alu instid0(VALU_DEP_1) | instskip(SKIP_1) | instid1(VALU_DEP_2)
	v_dual_mul_f32 v10, v10, v134 :: v_dual_fmac_f32 v143, v159, v11
	v_mul_f32_e32 v11, v11, v135
	v_fmac_f32_e32 v143, v160, v12
	ds_load_b128 v[157:160], v139 offset:2528
	s_waitcnt lgkmcnt(2)
	v_dual_mul_f32 v12, v12, v136 :: v_dual_fmac_f32 v143, v149, v5
	s_delay_alu instid0(VALU_DEP_1) | instskip(NEXT) | instid1(VALU_DEP_1)
	v_fmac_f32_e32 v143, v150, v6
	v_fmac_f32_e32 v143, v151, v7
	s_delay_alu instid0(VALU_DEP_1) | instskip(SKIP_2) | instid1(VALU_DEP_1)
	v_fmac_f32_e32 v143, v152, v8
	ds_load_b128 v[149:152], v139 offset:512
	v_fmac_f32_e32 v143, v161, v1
	v_fmac_f32_e32 v143, v162, v2
	s_delay_alu instid0(VALU_DEP_1) | instskip(NEXT) | instid1(VALU_DEP_1)
	v_fmac_f32_e32 v143, v163, v3
	v_fmac_f32_e32 v143, v164, v4
	v_mul_f32_e32 v9, v9, v133
	ds_load_b128 v[133:136], v139 offset:1520
	s_waitcnt lgkmcnt(3)
	v_fmac_f32_e32 v10, v144, v154
	v_fmac_f32_e32 v11, v144, v155
	;; [unrolled: 1-line block ×4, first 2 shown]
	ds_load_b128 v[153:156], v139 offset:1504
	s_waitcnt lgkmcnt(3)
	v_dual_mul_f32 v5, v5, v157 :: v_dual_mul_f32 v6, v6, v158
	v_dual_mul_f32 v7, v7, v159 :: v_dual_mul_f32 v8, v8, v160
	ds_load_b128 v[157:160], v139 offset:544
	s_waitcnt lgkmcnt(3)
	v_fmac_f32_e32 v125, v143, v149
	v_fmac_f32_e32 v126, v143, v150
	v_fmac_f32_e32 v127, v143, v151
	v_fmac_f32_e32 v128, v143, v152
	ds_load_b128 v[149:152], v139 offset:560
	s_waitcnt lgkmcnt(2)
	v_fmac_f32_e32 v5, v144, v153
	v_fmac_f32_e32 v6, v144, v154
	v_fmac_f32_e32 v7, v144, v155
	v_fmac_f32_e32 v8, v144, v156
	;; [unrolled: 6-line block ×4, first 2 shown]
	ds_load_b128 v[153:156], v139 offset:576
	v_fmac_f32_e32 v113, v143, v149
	v_fmac_f32_e32 v114, v143, v150
	v_fmac_f32_e32 v115, v143, v151
	v_fmac_f32_e32 v116, v143, v152
	ds_load_b128 v[149:152], v139 offset:608
	s_waitcnt lgkmcnt(2)
	v_fmac_f32_e32 v105, v143, v157
	v_fmac_f32_e32 v106, v143, v158
	v_fmac_f32_e32 v107, v143, v159
	v_fmac_f32_e32 v108, v143, v160
	ds_load_b128 v[157:160], v139 offset:640
	s_waitcnt lgkmcnt(2)
	;; [unrolled: 6-line block ×19, first 2 shown]
	v_fmac_f32_e32 v33, v143, v157
	v_fmac_f32_e32 v34, v143, v158
	;; [unrolled: 1-line block ×3, first 2 shown]
	s_waitcnt lgkmcnt(1)
	v_fmac_f32_e32 v37, v143, v153
	v_fmac_f32_e32 v38, v143, v154
	v_fmac_f32_e32 v39, v143, v155
	v_fmac_f32_e32 v40, v143, v156
	ds_load_b128 v[153:156], v139 offset:912
	v_fmac_f32_e32 v35, v143, v159
	ds_load_b128 v[157:160], v139 offset:928
	s_waitcnt lgkmcnt(2)
	v_fmac_f32_e32 v29, v143, v149
	v_fmac_f32_e32 v30, v143, v150
	;; [unrolled: 1-line block ×4, first 2 shown]
	ds_load_b128 v[149:152], v139 offset:944
	s_waitcnt lgkmcnt(2)
	v_fmac_f32_e32 v25, v143, v153
	v_fmac_f32_e32 v26, v143, v154
	s_waitcnt lgkmcnt(1)
	v_fmac_f32_e32 v22, v143, v158
	v_fmac_f32_e32 v21, v143, v157
	;; [unrolled: 1-line block ×4, first 2 shown]
	ds_load_b128 v[157:160], v139 offset:960
	s_waitcnt lgkmcnt(1)
	v_dual_fmac_f32 v19, v144, v131 :: v_dual_fmac_f32 v18, v143, v150
	v_dual_fmac_f32 v17, v144, v129 :: v_dual_fmac_f32 v20, v143, v152
	ds_load_b128 v[129:132], v139 offset:1472
	v_fmac_f32_e32 v27, v143, v155
	v_fmac_f32_e32 v28, v143, v156
	ds_load_b128 v[153:156], v139 offset:1536
	v_fmac_f32_e32 v17, v143, v149
	v_fmac_f32_e32 v19, v143, v151
	ds_load_b128 v[149:152], v139 offset:976
	s_waitcnt lgkmcnt(2)
	v_fmac_f32_e32 v16, v144, v132
	v_fmac_f32_e32 v14, v144, v130
	s_delay_alu instid0(VALU_DEP_2)
	v_dual_fmac_f32 v15, v144, v131 :: v_dual_fmac_f32 v16, v143, v160
	s_waitcnt lgkmcnt(0)
	v_dual_fmac_f32 v12, v143, v152 :: v_dual_fmac_f32 v13, v144, v129
	v_fmac_f32_e32 v10, v143, v150
	v_fmac_f32_e32 v14, v143, v158
	v_fmac_f32_e32 v15, v143, v159
	v_fmac_f32_e32 v9, v143, v149
	v_fmac_f32_e32 v13, v143, v157
	ds_load_b128 v[157:160], v139 offset:1552
	v_fma_f32 v161, v125, v153, 0
	v_fmac_f32_e32 v11, v143, v151
	ds_load_b128 v[149:152], v139 offset:992
	ds_load_b128 v[129:132], v139 offset:2544
	v_fmac_f32_e32 v161, v126, v154
	s_delay_alu instid0(VALU_DEP_1) | instskip(NEXT) | instid1(VALU_DEP_1)
	v_fmac_f32_e32 v161, v127, v155
	v_fmac_f32_e32 v161, v128, v156
	ds_load_b128 v[153:156], v139 offset:1568
	s_waitcnt lgkmcnt(3)
	v_fmac_f32_e32 v161, v121, v157
	s_waitcnt lgkmcnt(1)
	v_dual_mul_f32 v1, v1, v129 :: v_dual_mul_f32 v2, v2, v130
	s_delay_alu instid0(VALU_DEP_2) | instskip(SKIP_1) | instid1(VALU_DEP_3)
	v_fmac_f32_e32 v161, v122, v158
	v_dual_mul_f32 v3, v3, v131 :: v_dual_mul_f32 v4, v4, v132
	v_fmac_f32_e32 v1, v144, v133
	s_delay_alu instid0(VALU_DEP_3) | instskip(NEXT) | instid1(VALU_DEP_3)
	v_dual_fmac_f32 v2, v144, v134 :: v_dual_fmac_f32 v161, v123, v159
	v_fmac_f32_e32 v3, v144, v135
	s_delay_alu instid0(VALU_DEP_4) | instskip(SKIP_1) | instid1(VALU_DEP_4)
	v_fmac_f32_e32 v4, v144, v136
	v_add_co_u32 v129, vcc_lo, s30, v141
	v_fmac_f32_e32 v161, v124, v160
	ds_load_b128 v[157:160], v139 offset:1584
	v_add_co_ci_u32_e32 v130, vcc_lo, s31, v142, vcc_lo
	v_add_co_u32 v141, vcc_lo, v141, s2
	s_waitcnt lgkmcnt(1)
	v_fmac_f32_e32 v161, v117, v153
	v_add_co_ci_u32_e32 v142, vcc_lo, s3, v142, vcc_lo
	s_delay_alu instid0(VALU_DEP_2) | instskip(NEXT) | instid1(VALU_DEP_1)
	v_fmac_f32_e32 v161, v118, v154
	v_fmac_f32_e32 v161, v119, v155
	s_delay_alu instid0(VALU_DEP_1) | instskip(SKIP_3) | instid1(VALU_DEP_1)
	v_fmac_f32_e32 v161, v120, v156
	ds_load_b128 v[153:156], v139 offset:1600
	s_waitcnt lgkmcnt(1)
	v_fmac_f32_e32 v161, v113, v157
	v_fmac_f32_e32 v161, v114, v158
	s_delay_alu instid0(VALU_DEP_1) | instskip(NEXT) | instid1(VALU_DEP_1)
	v_fmac_f32_e32 v161, v115, v159
	v_fmac_f32_e32 v161, v116, v160
	ds_load_b128 v[157:160], v139 offset:1616
	s_waitcnt lgkmcnt(1)
	v_fmac_f32_e32 v161, v109, v153
	s_delay_alu instid0(VALU_DEP_1) | instskip(NEXT) | instid1(VALU_DEP_1)
	v_fmac_f32_e32 v161, v110, v154
	v_fmac_f32_e32 v161, v111, v155
	s_delay_alu instid0(VALU_DEP_1) | instskip(SKIP_3) | instid1(VALU_DEP_1)
	v_fmac_f32_e32 v161, v112, v156
	ds_load_b128 v[153:156], v139 offset:1632
	s_waitcnt lgkmcnt(1)
	v_fmac_f32_e32 v161, v105, v157
	v_fmac_f32_e32 v161, v106, v158
	s_delay_alu instid0(VALU_DEP_1) | instskip(NEXT) | instid1(VALU_DEP_1)
	v_fmac_f32_e32 v161, v107, v159
	v_fmac_f32_e32 v161, v108, v160
	ds_load_b128 v[157:160], v139 offset:1648
	s_waitcnt lgkmcnt(1)
	v_fmac_f32_e32 v161, v101, v153
	s_delay_alu instid0(VALU_DEP_1) | instskip(NEXT) | instid1(VALU_DEP_1)
	;; [unrolled: 15-line block ×13, first 2 shown]
	v_fmac_f32_e32 v161, v14, v154
	v_fmac_f32_e32 v161, v15, v155
	s_delay_alu instid0(VALU_DEP_1) | instskip(SKIP_3) | instid1(VALU_DEP_1)
	v_fmac_f32_e32 v161, v16, v156
	ds_load_b128 v[153:156], v139 offset:2016
	s_waitcnt lgkmcnt(1)
	v_fmac_f32_e32 v161, v9, v157
	v_fmac_f32_e32 v161, v10, v158
	s_delay_alu instid0(VALU_DEP_1) | instskip(NEXT) | instid1(VALU_DEP_1)
	v_fmac_f32_e32 v161, v11, v159
	v_fmac_f32_e32 v161, v12, v160
	ds_load_b128 v[157:160], v139 offset:1008
	v_fmac_f32_e32 v5, v143, v149
	v_fmac_f32_e32 v6, v143, v150
	v_fmac_f32_e32 v7, v143, v151
	v_fmac_f32_e32 v8, v143, v152
	ds_load_b128 v[149:152], v139 offset:2032
	s_waitcnt lgkmcnt(2)
	v_fmac_f32_e32 v161, v5, v153
	s_delay_alu instid0(VALU_DEP_1) | instskip(NEXT) | instid1(VALU_DEP_1)
	v_fmac_f32_e32 v161, v6, v154
	v_fmac_f32_e32 v161, v7, v155
	s_waitcnt lgkmcnt(1)
	v_fmac_f32_e32 v1, v143, v157
	s_delay_alu instid0(VALU_DEP_2) | instskip(SKIP_2) | instid1(VALU_DEP_2)
	v_dual_fmac_f32 v161, v8, v156 :: v_dual_fmac_f32 v2, v143, v158
	v_fmac_f32_e32 v3, v143, v159
	s_waitcnt lgkmcnt(0)
	v_dual_fmac_f32 v4, v143, v160 :: v_dual_fmac_f32 v161, v1, v149
	s_delay_alu instid0(VALU_DEP_1) | instskip(NEXT) | instid1(VALU_DEP_1)
	v_fmac_f32_e32 v161, v2, v150
	v_fmac_f32_e32 v161, v3, v151
	s_delay_alu instid0(VALU_DEP_1)
	v_fmac_f32_e32 v161, v4, v152
	global_store_b32 v[129:130], v161, off
	s_and_not1_b32 exec_lo, exec_lo, s4
	s_cbranch_execnz .LBB3_2
; %bb.3:
	s_or_b32 exec_lo, exec_lo, s4
.LBB3_4:
	s_delay_alu instid0(SALU_CYCLE_1) | instskip(SKIP_1) | instid1(VALU_DEP_1)
	s_or_b32 exec_lo, exec_lo, s1
	v_mad_u64_u32 v[129:130], null, s6, s5, v[137:138]
	v_ashrrev_i32_e32 v130, 31, v129
	s_delay_alu instid0(VALU_DEP_1) | instskip(NEXT) | instid1(VALU_DEP_1)
	v_lshlrev_b64 v[129:130], 2, v[129:130]
	v_add_co_u32 v129, vcc_lo, s30, v129
	s_delay_alu instid0(VALU_DEP_2)
	v_add_co_ci_u32_e32 v130, vcc_lo, s31, v130, vcc_lo
	s_waitcnt vmcnt(31)
	global_store_b128 v[129:130], v[125:128], off
	s_waitcnt vmcnt(30)
	global_store_b128 v[129:130], v[121:124], off offset:16
	s_waitcnt vmcnt(29)
	global_store_b128 v[129:130], v[117:120], off offset:32
	;; [unrolled: 2-line block ×31, first 2 shown]
	s_nop 0
	s_sendmsg sendmsg(MSG_DEALLOC_VGPRS)
	s_endpgm
	.section	.rodata,"a",@progbits
	.p2align	6, 0x0
	.amdhsa_kernel _ZL13rwkv_wkv7_f32ILi128EEviiiiPKfS1_S1_S1_S1_S1_S1_Pf
		.amdhsa_group_segment_fixed_size 2560
		.amdhsa_private_segment_fixed_size 0
		.amdhsa_kernarg_size 80
		.amdhsa_user_sgpr_count 15
		.amdhsa_user_sgpr_dispatch_ptr 0
		.amdhsa_user_sgpr_queue_ptr 0
		.amdhsa_user_sgpr_kernarg_segment_ptr 1
		.amdhsa_user_sgpr_dispatch_id 0
		.amdhsa_user_sgpr_private_segment_size 0
		.amdhsa_wavefront_size32 1
		.amdhsa_uses_dynamic_stack 0
		.amdhsa_enable_private_segment 0
		.amdhsa_system_sgpr_workgroup_id_x 1
		.amdhsa_system_sgpr_workgroup_id_y 0
		.amdhsa_system_sgpr_workgroup_id_z 0
		.amdhsa_system_sgpr_workgroup_info 0
		.amdhsa_system_vgpr_workitem_id 0
		.amdhsa_next_free_vgpr 165
		.amdhsa_next_free_sgpr 32
		.amdhsa_reserve_vcc 1
		.amdhsa_float_round_mode_32 0
		.amdhsa_float_round_mode_16_64 0
		.amdhsa_float_denorm_mode_32 3
		.amdhsa_float_denorm_mode_16_64 3
		.amdhsa_dx10_clamp 1
		.amdhsa_ieee_mode 1
		.amdhsa_fp16_overflow 0
		.amdhsa_workgroup_processor_mode 1
		.amdhsa_memory_ordered 1
		.amdhsa_forward_progress 0
		.amdhsa_shared_vgpr_count 0
		.amdhsa_exception_fp_ieee_invalid_op 0
		.amdhsa_exception_fp_denorm_src 0
		.amdhsa_exception_fp_ieee_div_zero 0
		.amdhsa_exception_fp_ieee_overflow 0
		.amdhsa_exception_fp_ieee_underflow 0
		.amdhsa_exception_fp_ieee_inexact 0
		.amdhsa_exception_int_div_zero 0
	.end_amdhsa_kernel
	.section	.text._ZL13rwkv_wkv7_f32ILi128EEviiiiPKfS1_S1_S1_S1_S1_S1_Pf,"axG",@progbits,_ZL13rwkv_wkv7_f32ILi128EEviiiiPKfS1_S1_S1_S1_S1_S1_Pf,comdat
.Lfunc_end3:
	.size	_ZL13rwkv_wkv7_f32ILi128EEviiiiPKfS1_S1_S1_S1_S1_S1_Pf, .Lfunc_end3-_ZL13rwkv_wkv7_f32ILi128EEviiiiPKfS1_S1_S1_S1_S1_S1_Pf
                                        ; -- End function
	.section	.AMDGPU.csdata,"",@progbits
; Kernel info:
; codeLenInByte = 6216
; NumSgprs: 34
; NumVgprs: 165
; ScratchSize: 0
; MemoryBound: 0
; FloatMode: 240
; IeeeMode: 1
; LDSByteSize: 2560 bytes/workgroup (compile time only)
; SGPRBlocks: 4
; VGPRBlocks: 20
; NumSGPRsForWavesPerEU: 34
; NumVGPRsForWavesPerEU: 165
; Occupancy: 9
; WaveLimiterHint : 0
; COMPUTE_PGM_RSRC2:SCRATCH_EN: 0
; COMPUTE_PGM_RSRC2:USER_SGPR: 15
; COMPUTE_PGM_RSRC2:TRAP_HANDLER: 0
; COMPUTE_PGM_RSRC2:TGID_X_EN: 1
; COMPUTE_PGM_RSRC2:TGID_Y_EN: 0
; COMPUTE_PGM_RSRC2:TGID_Z_EN: 0
; COMPUTE_PGM_RSRC2:TIDIG_COMP_CNT: 0
	.text
	.p2alignl 7, 3214868480
	.fill 96, 4, 3214868480
	.type	__hip_cuid_6559091fb8cc51e,@object ; @__hip_cuid_6559091fb8cc51e
	.section	.bss,"aw",@nobits
	.globl	__hip_cuid_6559091fb8cc51e
__hip_cuid_6559091fb8cc51e:
	.byte	0                               ; 0x0
	.size	__hip_cuid_6559091fb8cc51e, 1

	.ident	"AMD clang version 19.0.0git (https://github.com/RadeonOpenCompute/llvm-project roc-6.4.0 25133 c7fe45cf4b819c5991fe208aaa96edf142730f1d)"
	.section	".note.GNU-stack","",@progbits
	.addrsig
	.addrsig_sym __hip_cuid_6559091fb8cc51e
	.amdgpu_metadata
---
amdhsa.kernels:
  - .args:
      - .offset:         0
        .size:           4
        .value_kind:     by_value
      - .offset:         4
        .size:           4
        .value_kind:     by_value
      - .offset:         8
        .size:           4
        .value_kind:     by_value
      - .offset:         12
        .size:           4
        .value_kind:     by_value
      - .address_space:  global
        .offset:         16
        .size:           8
        .value_kind:     global_buffer
      - .address_space:  global
        .offset:         24
        .size:           8
        .value_kind:     global_buffer
      - .address_space:  global
        .offset:         32
        .size:           8
        .value_kind:     global_buffer
      - .address_space:  global
        .offset:         40
        .size:           8
        .value_kind:     global_buffer
      - .address_space:  global
        .offset:         48
        .size:           8
        .value_kind:     global_buffer
      - .address_space:  global
        .offset:         56
        .size:           8
        .value_kind:     global_buffer
      - .address_space:  global
        .offset:         64
        .size:           8
        .value_kind:     global_buffer
    .group_segment_fixed_size: 1024
    .kernarg_segment_align: 8
    .kernarg_segment_size: 72
    .language:       OpenCL C
    .language_version:
      - 2
      - 0
    .max_flat_workgroup_size: 1024
    .name:           _ZL12rwkv_wkv_f32ILi64EEviiiiPKfS1_S1_S1_S1_S1_Pf
    .private_segment_fixed_size: 0
    .sgpr_count:     23
    .sgpr_spill_count: 0
    .symbol:         _ZL12rwkv_wkv_f32ILi64EEviiiiPKfS1_S1_S1_S1_S1_Pf.kd
    .uniform_work_group_size: 1
    .uses_dynamic_stack: false
    .vgpr_count:     164
    .vgpr_spill_count: 0
    .wavefront_size: 32
    .workgroup_processor_mode: 1
  - .args:
      - .offset:         0
        .size:           4
        .value_kind:     by_value
      - .offset:         4
        .size:           4
        .value_kind:     by_value
      - .offset:         8
        .size:           4
        .value_kind:     by_value
      - .offset:         12
        .size:           4
        .value_kind:     by_value
      - .address_space:  global
        .offset:         16
        .size:           8
        .value_kind:     global_buffer
      - .address_space:  global
        .offset:         24
        .size:           8
        .value_kind:     global_buffer
      - .address_space:  global
        .offset:         32
        .size:           8
        .value_kind:     global_buffer
      - .address_space:  global
        .offset:         40
        .size:           8
        .value_kind:     global_buffer
      - .address_space:  global
        .offset:         48
        .size:           8
        .value_kind:     global_buffer
      - .address_space:  global
        .offset:         56
        .size:           8
        .value_kind:     global_buffer
      - .address_space:  global
        .offset:         64
        .size:           8
        .value_kind:     global_buffer
    .group_segment_fixed_size: 2048
    .kernarg_segment_align: 8
    .kernarg_segment_size: 72
    .language:       OpenCL C
    .language_version:
      - 2
      - 0
    .max_flat_workgroup_size: 1024
    .name:           _ZL12rwkv_wkv_f32ILi128EEviiiiPKfS1_S1_S1_S1_S1_Pf
    .private_segment_fixed_size: 312
    .sgpr_count:     28
    .sgpr_spill_count: 0
    .symbol:         _ZL12rwkv_wkv_f32ILi128EEviiiiPKfS1_S1_S1_S1_S1_Pf.kd
    .uniform_work_group_size: 1
    .uses_dynamic_stack: false
    .vgpr_count:     192
    .vgpr_spill_count: 77
    .wavefront_size: 32
    .workgroup_processor_mode: 1
  - .args:
      - .offset:         0
        .size:           4
        .value_kind:     by_value
      - .offset:         4
        .size:           4
        .value_kind:     by_value
      - .offset:         8
        .size:           4
        .value_kind:     by_value
      - .offset:         12
        .size:           4
        .value_kind:     by_value
      - .address_space:  global
        .offset:         16
        .size:           8
        .value_kind:     global_buffer
      - .address_space:  global
        .offset:         24
        .size:           8
        .value_kind:     global_buffer
      - .address_space:  global
        .offset:         32
        .size:           8
        .value_kind:     global_buffer
      - .address_space:  global
        .offset:         40
        .size:           8
        .value_kind:     global_buffer
      - .address_space:  global
        .offset:         48
        .size:           8
        .value_kind:     global_buffer
      - .address_space:  global
        .offset:         56
        .size:           8
        .value_kind:     global_buffer
      - .address_space:  global
        .offset:         64
        .size:           8
        .value_kind:     global_buffer
      - .address_space:  global
        .offset:         72
        .size:           8
        .value_kind:     global_buffer
    .group_segment_fixed_size: 1280
    .kernarg_segment_align: 8
    .kernarg_segment_size: 80
    .language:       OpenCL C
    .language_version:
      - 2
      - 0
    .max_flat_workgroup_size: 1024
    .name:           _ZL13rwkv_wkv7_f32ILi64EEviiiiPKfS1_S1_S1_S1_S1_S1_Pf
    .private_segment_fixed_size: 0
    .sgpr_count:     34
    .sgpr_spill_count: 0
    .symbol:         _ZL13rwkv_wkv7_f32ILi64EEviiiiPKfS1_S1_S1_S1_S1_S1_Pf.kd
    .uniform_work_group_size: 1
    .uses_dynamic_stack: false
    .vgpr_count:     94
    .vgpr_spill_count: 0
    .wavefront_size: 32
    .workgroup_processor_mode: 1
  - .args:
      - .offset:         0
        .size:           4
        .value_kind:     by_value
      - .offset:         4
        .size:           4
        .value_kind:     by_value
      - .offset:         8
        .size:           4
        .value_kind:     by_value
      - .offset:         12
        .size:           4
        .value_kind:     by_value
      - .address_space:  global
        .offset:         16
        .size:           8
        .value_kind:     global_buffer
      - .address_space:  global
        .offset:         24
        .size:           8
        .value_kind:     global_buffer
      - .address_space:  global
        .offset:         32
        .size:           8
        .value_kind:     global_buffer
      - .address_space:  global
        .offset:         40
        .size:           8
        .value_kind:     global_buffer
      - .address_space:  global
        .offset:         48
        .size:           8
        .value_kind:     global_buffer
      - .address_space:  global
        .offset:         56
        .size:           8
        .value_kind:     global_buffer
      - .address_space:  global
        .offset:         64
        .size:           8
        .value_kind:     global_buffer
      - .address_space:  global
        .offset:         72
        .size:           8
        .value_kind:     global_buffer
    .group_segment_fixed_size: 2560
    .kernarg_segment_align: 8
    .kernarg_segment_size: 80
    .language:       OpenCL C
    .language_version:
      - 2
      - 0
    .max_flat_workgroup_size: 1024
    .name:           _ZL13rwkv_wkv7_f32ILi128EEviiiiPKfS1_S1_S1_S1_S1_S1_Pf
    .private_segment_fixed_size: 0
    .sgpr_count:     34
    .sgpr_spill_count: 0
    .symbol:         _ZL13rwkv_wkv7_f32ILi128EEviiiiPKfS1_S1_S1_S1_S1_S1_Pf.kd
    .uniform_work_group_size: 1
    .uses_dynamic_stack: false
    .vgpr_count:     165
    .vgpr_spill_count: 0
    .wavefront_size: 32
    .workgroup_processor_mode: 1
amdhsa.target:   amdgcn-amd-amdhsa--gfx1100
amdhsa.version:
  - 1
  - 2
...

	.end_amdgpu_metadata
